;; amdgpu-corpus repo=ROCm/aiter kind=harvested arch=n/a opt=n/a

/root/src/amdgpu-assembly/repos/ROCm__aiter/hsa/gfx942/fmoe/gelu/fmoe_bf16_pertokenInt8_g1u0_gelu_1tg_ps_32x320.co:	file format elf64-amdgpu

Disassembly of section .text:

0000000000002e00 <_ZN5aiter46fmoe_bf16_pertokenInt8_g1u0_gelu_1tg_ps_32x320E>:
	v_lshrrev_b32_e32 v1, 10, v0                               // 000000002E00: 2002008A
	v_lshrrev_b32_e32 v2, 10, v1                               // 000000002E04: 2004028A
	v_and_b32_e32 v2, 0x3ff, v2                                // 000000002E08: 260404FF 000003FF
	v_and_b32_e32 v1, 0x3ff, v1                                // 000000002E10: 260202FF 000003FF
	v_and_b32_e32 v0, 0x3ff, v0                                // 000000002E18: 260000FF 000003FF
	v_lshrrev_b32_e32 v3, 6, v0                                // 000000002E20: 20060086
	v_and_b32_e32 v0, 63, v0                                   // 000000002E24: 260000BF
	s_mov_b32 s2, s2                                           // 000000002E28: BE820002
	s_mov_b32 s3, s3                                           // 000000002E2C: BE830003
	s_mov_b32 s4, s4                                           // 000000002E30: BE840004
	s_mov_b32 s99, s2                                          // 000000002E34: BEE30002
	v_readfirstlane_b32 s7, v3                                 // 000000002E38: 7E0E0503
	s_and_b32 s1, s1, 0xffff                                   // 000000002E3C: 8601FF01 0000FFFF
	s_mov_b32 s96, 0                                           // 000000002E44: BEE00080
	s_mov_b32 s97, 0                                           // 000000002E48: BEE10080
	s_mov_b32 s100, 0                                          // 000000002E4C: BEE40080
	s_load_dword s96, s[0:1], 0x1a0                            // 000000002E50: C0021800 000001A0
	s_load_dword s97, s[0:1], 0x1b0                            // 000000002E58: C0021840 000001B0
	s_waitcnt lgkmcnt(0)                                       // 000000002E60: BF8CC07F
	s_cmp_eq_u32 s96, 0                                        // 000000002E64: BF068060
	s_cbranch_scc1 label_005C                                  // 000000002E68: BF850041
	v_cvt_f32_u32_e32 v48, s97                                 // 000000002E6C: 7E600C61
	s_sub_i32 s60, 0, s97                                      // 000000002E70: 81BC6180
	v_rcp_iflag_f32_e32 v48, v48                               // 000000002E74: 7E604730
	s_nop 0                                                    // 000000002E78: BF800000
	v_mul_f32_e32 v48, 0x4f7ffffe, v48                         // 000000002E7C: 0A6060FF 4F7FFFFE
	v_cvt_u32_f32_e32 v48, v48                                 // 000000002E84: 7E600F30
	v_mul_lo_u32 v49, s60, v48                                 // 000000002E88: D2850031 0002603C
	v_mul_hi_u32 v49, v48, v49                                 // 000000002E90: D2860031 00026330
	v_add_u32_e32 v48, v48, v49                                // 000000002E98: 68606330
	v_mul_hi_u32 v48, s96, v48                                 // 000000002E9C: D2860030 00026060
	v_mul_lo_u32 v49, v48, s97                                 // 000000002EA4: D2850031 0000C330
	v_sub_u32_e32 v51, s96, v49                                // 000000002EAC: 6A666260
	v_add_u32_e32 v50, 1, v48                                  // 000000002EB0: 68646081
	v_cmp_le_u32_e32 vcc, s97, v51                             // 000000002EB4: 7D966661
	v_subrev_u32_e32 v49, s97, v51                             // 000000002EB8: 6C626661
	s_nop 0                                                    // 000000002EBC: BF800000
	v_cndmask_b32_e32 v48, v48, v50, vcc                       // 000000002EC0: 00606530
	v_cndmask_b32_e32 v51, v51, v49, vcc                       // 000000002EC4: 00666333
	v_add_u32_e32 v49, 1, v48                                  // 000000002EC8: 68626081
	v_cmp_le_u32_e32 vcc, s97, v51                             // 000000002ECC: 7D966661
	s_nop 1                                                    // 000000002ED0: BF800001
	v_cndmask_b32_e32 v51, v48, v49, vcc                       // 000000002ED4: 00666330
	s_nop 3                                                    // 000000002ED8: BF800003
	v_readfirstlane_b32 s98, v51                               // 000000002EDC: 7EC40533
	s_nop 3                                                    // 000000002EE0: BF800003

0000000000002ee4 <label_0039>:
	s_mov_b32 s4, 0                                            // 000000002EE4: BE840080
	v_cvt_f32_u32_e32 v48, s97                                 // 000000002EE8: 7E600C61
	s_sub_i32 s60, 0, s97                                      // 000000002EEC: 81BC6180
	v_rcp_iflag_f32_e32 v48, v48                               // 000000002EF0: 7E604730
	s_nop 0                                                    // 000000002EF4: BF800000
	v_mul_f32_e32 v48, 0x4f7ffffe, v48                         // 000000002EF8: 0A6060FF 4F7FFFFE
	v_cvt_u32_f32_e32 v48, v48                                 // 000000002F00: 7E600F30
	v_mul_lo_u32 v49, s60, v48                                 // 000000002F04: D2850031 0002603C
	v_mul_hi_u32 v49, v48, v49                                 // 000000002F0C: D2860031 00026330
	v_add_u32_e32 v48, v48, v49                                // 000000002F14: 68606330
	v_mul_hi_u32 v48, s99, v48                                 // 000000002F18: D2860030 00026063
	v_mul_lo_u32 v49, v48, s97                                 // 000000002F20: D2850031 0000C330
	v_sub_u32_e32 v51, s99, v49                                // 000000002F28: 6A666263
	v_add_u32_e32 v50, 1, v48                                  // 000000002F2C: 68646081
	v_cmp_le_u32_e32 vcc, s97, v51                             // 000000002F30: 7D966661
	v_subrev_u32_e32 v49, s97, v51                             // 000000002F34: 6C626661
	s_nop 0                                                    // 000000002F38: BF800000
	v_cndmask_b32_e32 v48, v48, v50, vcc                       // 000000002F3C: 00606530
	v_cndmask_b32_e32 v51, v51, v49, vcc                       // 000000002F40: 00666333
	v_add_u32_e32 v49, 1, v48                                  // 000000002F44: 68626081
	v_cmp_le_u32_e32 vcc, s97, v51                             // 000000002F48: 7D966661
	s_nop 1                                                    // 000000002F4C: BF800001
	v_cndmask_b32_e32 v51, v48, v49, vcc                       // 000000002F50: 00666330
	s_nop 3                                                    // 000000002F54: BF800003
	v_readfirstlane_b32 s3, v51                                // 000000002F58: 7E060533
	s_nop 3                                                    // 000000002F5C: BF800003
	s_mul_i32 s60, s3, s97                                     // 000000002F60: 923C6103
	s_sub_u32 s2, s99, s60                                     // 000000002F64: 80823C63
	s_mul_i32 s60, s98, s100                                   // 000000002F68: 923C6462
	s_add_i32 s3, s3, s60                                      // 000000002F6C: 81033C03

0000000000002f70 <label_005C>:
	s_and_b32 s1, s1, 0xffff                                   // 000000002F70: 8601FF01 0000FFFF
	s_load_dwordx2 s[8:9], s[0:1], 0x0                         // 000000002F78: C0060200 00000000
	s_load_dwordx2 s[20:21], s[0:1], 0x10                      // 000000002F80: C0060500 00000010
	s_load_dwordx2 s[24:25], s[0:1], 0x20                      // 000000002F88: C0060600 00000020
	s_load_dwordx2 s[50:51], s[0:1], 0x30                      // 000000002F90: C0060C80 00000030
	s_load_dwordx2 s[12:13], s[0:1], 0x40                      // 000000002F98: C0060300 00000040
	s_load_dwordx2 s[28:29], s[0:1], 0x50                      // 000000002FA0: C0060700 00000050
	s_load_dwordx2 s[32:33], s[0:1], 0x60                      // 000000002FA8: C0060800 00000060
	s_load_dwordx2 s[16:17], s[0:1], 0x70                      // 000000002FB0: C0060400 00000070
	s_load_dwordx2 s[36:37], s[0:1], 0x80                      // 000000002FB8: C0060900 00000080
	s_load_dwordx2 s[44:45], s[0:1], 0x90                      // 000000002FC0: C0060B00 00000090
	s_load_dwordx2 s[40:41], s[0:1], 0xa0                      // 000000002FC8: C0060A00 000000A0
	s_load_dwordx2 s[46:47], s[0:1], 0xb0                      // 000000002FD0: C0060B80 000000B0
	s_load_dword s64, s[0:1], 0xc0                             // 000000002FD8: C0021000 000000C0
	s_load_dword s65, s[0:1], 0xd0                             // 000000002FE0: C0021040 000000D0
	s_load_dword s67, s[0:1], 0xf0                             // 000000002FE8: C00210C0 000000F0
	s_load_dword s68, s[0:1], 0x100                            // 000000002FF0: C0021100 00000100
	s_load_dword s69, s[0:1], 0x110                            // 000000002FF8: C0021140 00000110
	s_load_dword s70, s[0:1], 0x120                            // 000000003000: C0021180 00000120
	s_load_dword s71, s[0:1], 0x130                            // 000000003008: C00211C0 00000130
	s_load_dword s72, s[0:1], 0x140                            // 000000003010: C0021200 00000140
	s_load_dword s73, s[0:1], 0x150                            // 000000003018: C0021240 00000150
	s_load_dword s74, s[0:1], 0x160                            // 000000003020: C0021280 00000160
	s_load_dword s75, s[0:1], 0x170                            // 000000003028: C00212C0 00000170
	s_load_dword s76, s[0:1], 0x180                            // 000000003030: C0021300 00000180
	s_load_dword s63, s[0:1], 0x190                            // 000000003038: C0020FC0 00000190
	s_mov_b32 s2, s2                                           // 000000003040: BE820002
	s_mov_b32 s3, s3                                           // 000000003044: BE830003
	s_mov_b32 s4, s4                                           // 000000003048: BE840004
	s_waitcnt lgkmcnt(0)                                       // 00000000304C: BF8CC07F
	s_and_b32 s51, s51, 0xffff                                 // 000000003050: 8633FF33 0000FFFF
	s_load_dword s66, s[50:51], 0x4                            // 000000003058: C0021099 00000004
	s_load_dword s50, s[50:51], 0x0                            // 000000003060: C0020C99 00000000
	s_waitcnt lgkmcnt(0)                                       // 000000003068: BF8CC07F
	s_and_b32 s45, s45, 0xffff                                 // 00000000306C: 862DFF2D 0000FFFF
	s_and_b32 s47, s47, 0xffff                                 // 000000003074: 862FFF2F 0000FFFF
	s_and_b32 s9, s9, 0xffff                                   // 00000000307C: 8609FF09 0000FFFF
	s_mul_i32 s60, s66, s68                                    // 000000003084: 923C4442
	s_mul_i32 s60, s63, s60                                    // 000000003088: 923C3C3F
	s_mul_i32 s61, s66, 4                                      // 00000000308C: 923D8442
	s_mul_i32 s61, s63, s61                                    // 000000003090: 923D3D3F
	s_mov_b32 s22, s60                                         // 000000003094: BE96003C
	s_mov_b32 s26, -16                                         // 000000003098: BE9A00D0
	s_mov_b32 s14, -16                                         // 00000000309C: BE8E00D0
	s_mov_b32 s42, -16                                         // 0000000030A0: BEAA00D0
	s_mov_b32 s30, s61                                         // 0000000030A4: BE9E003D
	s_mov_b32 s34, 0x500                                       // 0000000030A8: BEA200FF 00000500
	s_mov_b32 s38, 0x500                                       // 0000000030B0: BEA600FF 00000500
	s_mov_b32 s18, -16                                         // 0000000030B8: BE9200D0
	s_mov_b32 s23, 0x20000                                     // 0000000030BC: BE9700FF 00020000
	s_mov_b32 s27, 0x20000                                     // 0000000030C4: BE9B00FF 00020000
	s_mov_b32 s15, 0x20000                                     // 0000000030CC: BE8F00FF 00020000
	s_mov_b32 s43, 0x20000                                     // 0000000030D4: BEAB00FF 00020000
	s_mov_b32 s31, 0x20000                                     // 0000000030DC: BE9F00FF 00020000
	s_mov_b32 s35, 0x20000                                     // 0000000030E4: BEA300FF 00020000
	s_mov_b32 s39, 0x20000                                     // 0000000030EC: BEA700FF 00020000
	s_mov_b32 s19, 0x20000                                     // 0000000030F4: BE9300FF 00020000
	s_and_b32 s21, s21, 0xffff                                 // 0000000030FC: 8615FF15 0000FFFF
	s_and_b32 s25, s25, 0xffff                                 // 000000003104: 8619FF19 0000FFFF
	s_and_b32 s13, s13, 0xffff                                 // 00000000310C: 860DFF0D 0000FFFF
	s_and_b32 s41, s41, 0xffff                                 // 000000003114: 8629FF29 0000FFFF
	s_and_b32 s29, s29, 0xffff                                 // 00000000311C: 861DFF1D 0000FFFF
	s_and_b32 s33, s33, 0xffff                                 // 000000003124: 8621FF21 0000FFFF
	s_and_b32 s37, s37, 0xffff                                 // 00000000312C: 8625FF25 0000FFFF
	s_and_b32 s17, s17, 0xffff                                 // 000000003134: 8611FF11 0000FFFF
	s_or_b32 s21, s21, 0x40000                                 // 00000000313C: 8715FF15 00040000
	s_or_b32 s25, s25, 0x40000                                 // 000000003144: 8719FF19 00040000
	s_or_b32 s13, s13, 0x40000                                 // 00000000314C: 870DFF0D 00040000
	s_or_b32 s41, s41, 0x40000                                 // 000000003154: 8729FF29 00040000
	s_or_b32 s29, s29, 0x40000                                 // 00000000315C: 871DFF1D 00040000
	s_or_b32 s33, s33, 0x40000                                 // 000000003164: 8721FF21 00040000
	s_or_b32 s37, s37, 0x40000                                 // 00000000316C: 8725FF25 00040000
	s_or_b32 s17, s17, 0x40000                                 // 000000003174: 8711FF11 00040000
	v_accvgpr_write_b32 a159, 0                                // 00000000317C: D3D9409F 18000080
	v_mov_b32_e32 v231, 0                                      // 000000003184: 7FCE0280
	s_waitcnt lgkmcnt(0)                                       // 000000003188: BF8CC07F
	s_mul_i32 s60, s3, 32                                      // 00000000318C: 923CA003
	s_cmp_lt_i32 s60, s50                                      // 000000003190: BF04323C
	s_cbranch_scc0 label_1B0A                                  // 000000003194: BF841A24
	s_mov_b32 s80, 0                                           // 000000003198: BED00080
	s_mov_b32 s81, s64                                         // 00000000319C: BED10040
	s_mul_i32 s60, s3, 4                                       // 0000000031A0: 923C8403
	s_add_u32 s46, s60, s46                                    // 0000000031A4: 802E2E3C
	s_addc_u32 s47, 0, s47                                     // 0000000031A8: 822F2F80
	s_load_dword s5, s[46:47], 0x0                             // 0000000031AC: C0020157 00000000
	s_mul_i32 s60, s3, 32                                      // 0000000031B4: 923CA003
	s_mul_i32 s60, 4, s60                                      // 0000000031B8: 923C3C84
	v_and_b32_e32 v48, 15, v0                                  // 0000000031BC: 2660008F
	v_lshlrev_b32_e32 v48, 2, v48                              // 0000000031C0: 24606082
	v_add_u32_e32 v48, s60, v48                                // 0000000031C4: 6860603C
	v_mov_b32_e32 v49, 0                                       // 0000000031C8: 7E620280
	global_load_dword v6, v48, s[44:45]                        // 0000000031CC: DC508000 062C0030
	v_add_u32_e32 v48, 64, v48                                 // 0000000031D4: 686060C0
	global_load_dword v7, v48, s[44:45]                        // 0000000031D8: DC508000 072C0030
	s_mul_i32 s60, s3, 32                                      // 0000000031E0: 923CA003
	s_add_u32 s60, s7, s60                                     // 0000000031E4: 803C3C07
	s_mul_i32 s60, 4, s60                                      // 0000000031E8: 923C3C84
	s_add_u32 s44, s60, s44                                    // 0000000031EC: 802C2C3C
	s_addc_u32 s45, 0, s45                                     // 0000000031F0: 822D2D80
	s_load_dword s82, s[44:45], 0x0                            // 0000000031F4: C0021496 00000000
	s_load_dword s83, s[44:45], 0x10                           // 0000000031FC: C00214D6 00000010
	s_load_dword s84, s[44:45], 0x20                           // 000000003204: C0021516 00000020
	s_load_dword s85, s[44:45], 0x30                           // 00000000320C: C0021556 00000030
	s_load_dword s86, s[44:45], 0x40                           // 000000003214: C0021596 00000040
	s_load_dword s87, s[44:45], 0x50                           // 00000000321C: C00215D6 00000050
	s_load_dword s88, s[44:45], 0x60                           // 000000003224: C0021616 00000060
	s_load_dword s89, s[44:45], 0x70                           // 00000000322C: C0021656 00000070
	s_waitcnt lgkmcnt(0)                                       // 000000003234: BF8CC07F
	v_lshlrev_b32_e32 v48, 2, v0                               // 000000003238: 24600082
	s_lshr_b32 s61, s82, 24                                    // 00000000323C: 8F3D9852
	s_mul_i32 s61, s61, s68                                    // 000000003240: 923D443D
	s_mul_i32 s61, s61, s66                                    // 000000003244: 923D423D
	s_and_b32 s82, s82, 0xffffff                               // 000000003248: 8652FF52 00FFFFFF
	s_mul_i32 s60, s82, s68                                    // 000000003250: 923C4452
	s_add_u32 s60, s61, s60                                    // 000000003254: 803C3C3D
	v_add_u32_e64 v26, v48, s60                                // 000000003258: D134001A 00007930
	s_lshr_b32 s61, s83, 24                                    // 000000003260: 8F3D9853
	s_mul_i32 s61, s61, s68                                    // 000000003264: 923D443D
	s_mul_i32 s61, s61, s66                                    // 000000003268: 923D423D
	s_and_b32 s83, s83, 0xffffff                               // 00000000326C: 8653FF53 00FFFFFF
	s_mul_i32 s60, s83, s68                                    // 000000003274: 923C4453
	s_add_u32 s60, s61, s60                                    // 000000003278: 803C3C3D
	v_add_u32_e64 v27, v48, s60                                // 00000000327C: D134001B 00007930
	s_lshr_b32 s61, s84, 24                                    // 000000003284: 8F3D9854
	s_mul_i32 s61, s61, s68                                    // 000000003288: 923D443D
	s_mul_i32 s61, s61, s66                                    // 00000000328C: 923D423D
	s_and_b32 s84, s84, 0xffffff                               // 000000003290: 8654FF54 00FFFFFF
	s_mul_i32 s60, s84, s68                                    // 000000003298: 923C4454
	s_add_u32 s60, s61, s60                                    // 00000000329C: 803C3C3D
	v_add_u32_e64 v28, v48, s60                                // 0000000032A0: D134001C 00007930
	s_lshr_b32 s61, s85, 24                                    // 0000000032A8: 8F3D9855
	s_mul_i32 s61, s61, s68                                    // 0000000032AC: 923D443D
	s_mul_i32 s61, s61, s66                                    // 0000000032B0: 923D423D
	s_and_b32 s85, s85, 0xffffff                               // 0000000032B4: 8655FF55 00FFFFFF
	s_mul_i32 s60, s85, s68                                    // 0000000032BC: 923C4455
	s_add_u32 s60, s61, s60                                    // 0000000032C0: 803C3C3D
	v_add_u32_e64 v29, v48, s60                                // 0000000032C4: D134001D 00007930
	s_lshr_b32 s61, s86, 24                                    // 0000000032CC: 8F3D9856
	s_mul_i32 s61, s61, s68                                    // 0000000032D0: 923D443D
	s_mul_i32 s61, s61, s66                                    // 0000000032D4: 923D423D
	s_and_b32 s86, s86, 0xffffff                               // 0000000032D8: 8656FF56 00FFFFFF
	s_mul_i32 s60, s86, s68                                    // 0000000032E0: 923C4456
	s_add_u32 s60, s61, s60                                    // 0000000032E4: 803C3C3D
	v_add_u32_e64 v30, v48, s60                                // 0000000032E8: D134001E 00007930
	s_lshr_b32 s61, s87, 24                                    // 0000000032F0: 8F3D9857
	s_mul_i32 s61, s61, s68                                    // 0000000032F4: 923D443D
	s_mul_i32 s61, s61, s66                                    // 0000000032F8: 923D423D
	s_and_b32 s87, s87, 0xffffff                               // 0000000032FC: 8657FF57 00FFFFFF
	s_mul_i32 s60, s87, s68                                    // 000000003304: 923C4457
	s_add_u32 s60, s61, s60                                    // 000000003308: 803C3C3D
	v_add_u32_e64 v31, v48, s60                                // 00000000330C: D134001F 00007930
	s_lshr_b32 s61, s88, 24                                    // 000000003314: 8F3D9858
	s_mul_i32 s61, s61, s68                                    // 000000003318: 923D443D
	s_mul_i32 s61, s61, s66                                    // 00000000331C: 923D423D
	s_and_b32 s88, s88, 0xffffff                               // 000000003320: 8658FF58 00FFFFFF
	s_mul_i32 s60, s88, s68                                    // 000000003328: 923C4458
	s_add_u32 s60, s61, s60                                    // 00000000332C: 803C3C3D
	v_add_u32_e64 v32, v48, s60                                // 000000003330: D1340020 00007930
	s_lshr_b32 s61, s89, 24                                    // 000000003338: 8F3D9859
	s_mul_i32 s61, s61, s68                                    // 00000000333C: 923D443D
	s_mul_i32 s61, s61, s66                                    // 000000003340: 923D423D
	s_and_b32 s89, s89, 0xffffff                               // 000000003344: 8659FF59 00FFFFFF
	s_mul_i32 s60, s89, s68                                    // 00000000334C: 923C4459
	s_add_u32 s60, s61, s60                                    // 000000003350: 803C3C3D
	v_add_u32_e64 v33, v48, s60                                // 000000003354: D1340021 00007930
	v_lshlrev_b32_e32 v48, 2, v0                               // 00000000335C: 24600082
	s_mul_i32 s60, s82, s71                                    // 000000003360: 923C4752
	v_add_u32_e64 v80, v48, s60                                // 000000003364: D1340050 00007930
	v_mov_b32_e32 v81, 0                                       // 00000000336C: 7EA20280
	s_mul_i32 s60, s83, s71                                    // 000000003370: 923C4753
	v_add_u32_e64 v82, v48, s60                                // 000000003374: D1340052 00007930
	v_mov_b32_e32 v83, 0                                       // 00000000337C: 7EA60280
	s_mul_i32 s60, s84, s71                                    // 000000003380: 923C4754
	v_add_u32_e64 v84, v48, s60                                // 000000003384: D1340054 00007930
	v_mov_b32_e32 v85, 0                                       // 00000000338C: 7EAA0280
	s_mul_i32 s60, s85, s71                                    // 000000003390: 923C4755
	v_add_u32_e64 v86, v48, s60                                // 000000003394: D1340056 00007930
	v_mov_b32_e32 v87, 0                                       // 00000000339C: 7EAE0280
	s_mul_i32 s60, s86, s71                                    // 0000000033A0: 923C4756
	v_add_u32_e64 v88, v48, s60                                // 0000000033A4: D1340058 00007930
	v_mov_b32_e32 v89, 0                                       // 0000000033AC: 7EB20280
	s_mul_i32 s60, s87, s71                                    // 0000000033B0: 923C4757
	v_add_u32_e64 v90, v48, s60                                // 0000000033B4: D134005A 00007930
	v_mov_b32_e32 v91, 0                                       // 0000000033BC: 7EB60280
	s_mul_i32 s60, s88, s71                                    // 0000000033C0: 923C4758
	v_add_u32_e64 v92, v48, s60                                // 0000000033C4: D134005C 00007930
	v_mov_b32_e32 v93, 0                                       // 0000000033CC: 7EBA0280
	s_mul_i32 s60, s89, s71                                    // 0000000033D0: 923C4759
	v_add_u32_e64 v94, v48, s60                                // 0000000033D4: D134005E 00007930
	v_mov_b32_e32 v95, 0                                       // 0000000033DC: 7EBE0280
	s_mul_i32 s60, s7, 0x820                                   // 0000000033E0: 923CFF07 00000820
	s_add_u32 s50, 0, s60                                      // 0000000033E8: 80323C80
	s_add_u32 s51, 0x2080, s50                                 // 0000000033EC: 803332FF 00002080
	v_lshrrev_b32_e32 v48, 4, v0                               // 0000000033F4: 20600084
	v_lshlrev_b32_e32 v49, 2, v48                              // 0000000033F8: 24626082
	v_and_b32_e32 v48, 15, v0                                  // 0000000033FC: 2660008F
	v_lshrrev_b32_e32 v50, 2, v48                              // 000000003400: 20646082
	v_lshlrev_b32_e32 v50, 6, v50                              // 000000003404: 24646486
	v_add_u32_e32 v49, v50, v49                                // 000000003408: 68626332
	v_and_b32_e32 v48, 3, v0                                   // 00000000340C: 26600083
	v_mul_i32_i24_e32 v50, 0x208, v48                          // 000000003410: 0C6460FF 00000208
	v_add_u32_e32 v49, v50, v49                                // 000000003418: 68626332
	v_lshlrev_b32_e32 v2, 2, v49                               // 00000000341C: 24046282
	s_mul_i32 s60, s2, 0x140                                   // 000000003420: 923CFF02 00000140
	s_mul_i32 s60, s60, s69                                    // 000000003428: 923C453C
	s_mul_i32 s61, s5, s72                                     // 00000000342C: 923D4805
	s_add_u32 s60, s61, s60                                    // 000000003430: 803C3C3D
	s_add_u32 s24, s60, s24                                    // 000000003434: 8018183C
	s_addc_u32 s25, 0, s25                                     // 000000003438: 82191980
	s_mul_i32 s60, s7, 16                                      // 00000000343C: 923C9007
	s_mul_i32 s60, s60, s69                                    // 000000003440: 923C453C
	v_lshlrev_b32_e32 v34, 4, v0                               // 000000003444: 24440084
	v_add_u32_e32 v34, s60, v34                                // 000000003448: 6844443C
	s_mul_i32 s60, 64, s69                                     // 00000000344C: 923C45C0
	v_add_u32_e32 v35, s60, v34                                // 000000003450: 6846443C
	v_add_u32_e32 v36, s60, v35                                // 000000003454: 6848463C
	v_add_u32_e32 v37, s60, v36                                // 000000003458: 684A483C
	v_add_u32_e32 v38, s60, v37                                // 00000000345C: 684C4A3C
	s_mul_i32 s60, s2, 0x1400                                  // 000000003460: 923CFF02 00001400
	s_mul_i32 s61, s5, s73                                     // 000000003468: 923D4905
	s_add_u32 s60, s61, s60                                    // 00000000346C: 803C3C3D
	s_add_u32 s12, s60, s12                                    // 000000003470: 800C0C3C
	s_addc_u32 s13, 0, s13                                     // 000000003474: 820D0D80
	s_mul_i32 s60, s7, 16                                      // 000000003478: 923C9007
	s_mul_i32 s60, s60, s70                                    // 00000000347C: 923C463C
	v_lshlrev_b32_e32 v39, 4, v0                               // 000000003480: 244E0084
	v_add_u32_e32 v39, s60, v39                                // 000000003484: 684E4E3C
	s_mul_i32 s60, 64, s70                                     // 000000003488: 923C46C0
	v_add_u32_e32 v40, s60, v39                                // 00000000348C: 68504E3C
	v_add_u32_e32 v41, s60, v40                                // 000000003490: 6852503C
	v_add_u32_e32 v42, s60, v41                                // 000000003494: 6854523C
	s_mul_i32 s60, s3, 32                                      // 000000003498: 923CA003
	s_mul_i32 s60, 4, s60                                      // 00000000349C: 923C3C84
	s_add_u32 s40, s60, s40                                    // 0000000034A0: 8028283C
	s_addc_u32 s41, 0, s41                                     // 0000000034A4: 82292980
	v_and_b32_e32 v48, 15, v0                                  // 0000000034A8: 2660008F
	v_lshlrev_b32_e32 v8, 2, v48                               // 0000000034AC: 24106082
	v_add_u32_e32 v9, 64, v8                                   // 0000000034B0: 681210C0
	v_lshrrev_b32_e32 v48, 4, v0                               // 0000000034B4: 20600084
	v_lshlrev_b32_e32 v49, 2, v48                              // 0000000034B8: 24626082
	v_and_b32_e32 v48, 15, v0                                  // 0000000034BC: 2660008F
	v_lshrrev_b32_e32 v50, 2, v48                              // 0000000034C0: 20646082
	v_lshlrev_b32_e32 v50, 6, v50                              // 0000000034C4: 24646486
	v_add_u32_e32 v49, v50, v49                                // 0000000034C8: 68626332
	v_and_b32_e32 v48, 3, v0                                   // 0000000034CC: 26600083
	v_add_u32_e32 v49, v48, v49                                // 0000000034D0: 68626330
	v_lshlrev_b32_e32 v10, 2, v49                              // 0000000034D4: 24146282
	v_add_u32_e32 v11, 0x400, v10                              // 0000000034D8: 681614FF 00000400
	s_mul_i32 s60, s7, 16                                      // 0000000034E0: 923C9007
	s_mul_i32 s60, s60, 4                                      // 0000000034E4: 923C843C
	v_add_u32_e32 v10, s60, v10                                // 0000000034E8: 6814143C
	v_add_u32_e32 v11, s60, v11                                // 0000000034EC: 6816163C
	v_mov_b32_e32 v5, v10                                      // 0000000034F0: 7E0A030A
	s_mul_i32 s60, s2, 0x140                                   // 0000000034F4: 923CFF02 00000140
	s_mul_i32 s60, s60, 4                                      // 0000000034FC: 923C843C
	s_mul_i32 s61, s5, s74                                     // 000000003500: 923D4A05
	s_add_u32 s61, s61, s60                                    // 000000003504: 803D3C3D
	s_mul_i32 s62, s5, s76                                     // 000000003508: 923E4C05
	s_add_u32 s62, s62, s60                                    // 00000000350C: 803E3C3E
	s_add_u32 s32, s61, s32                                    // 000000003510: 8020203D
	s_addc_u32 s33, 0, s33                                     // 000000003514: 82212180
	s_add_u32 s36, s62, s36                                    // 000000003518: 8024243E
	s_addc_u32 s37, 0, s37                                     // 00000000351C: 82252580
	s_mul_i32 s60, s5, s75                                     // 000000003520: 923C4B05
	s_add_u32 s16, s60, s16                                    // 000000003524: 8010103C
	s_addc_u32 s17, 0, s17                                     // 000000003528: 82111180
	s_mov_b32 s57, 0x100                                       // 00000000352C: BEB900FF 00000100
	s_mov_b32 s58, 0x1000                                      // 000000003534: BEBA00FF 00001000
	s_mov_b32 s79, 0x400                                       // 00000000353C: BECF00FF 00000400
	s_mov_b32 s59, 0x200                                       // 000000003544: BEBB00FF 00000200
	s_mul_i32 s60, s70, 0x100                                  // 00000000354C: 923CFF46 00000100
	s_mov_b32 s78, 0x400                                       // 000000003554: BECE00FF 00000400
	s_mul_i32 s61, s78, 4                                      // 00000000355C: 923D844E
	s_sub_u32 s56, s60, s61                                    // 000000003560: 80B83D3C
	s_mov_b32 s52, 0x7060302                                   // 000000003564: BEB400FF 07060302
	s_mov_b32 s53, 0x400                                       // 00000000356C: BEB500FF 00000400
	s_mov_b32 s54, 0x40100                                     // 000000003574: BEB600FF 00040100
	s_mov_b32 s55, 0x4020100                                   // 00000000357C: BEB700FF 04020100
	s_mov_b32 s6, 0x3fb8aa3b                                   // 000000003584: BE8600FF 3FB8AA3B
	s_mov_b32 s77, 0xbd92220c                                  // 00000000358C: BECD00FF BD92220C
	s_mov_b32 m0, s50                                          // 000000003594: BEFC0032
	v_mov_b32_e32 v1, 0xbfcc4231                               // 000000003598: 7E0202FF BFCC4231
	v_mov_b32_e32 v44, 0xffff0000                              // 0000000035A0: 7E5802FF FFFF0000
	v_mov_b32_e32 v45, 0x7fff0000                              // 0000000035A8: 7E5A02FF 7FFF0000
	v_mov_b32_e32 v46, 0x7fff                                  // 0000000035B0: 7E5C02FF 00007FFF
	s_waitcnt vmcnt(0) expcnt(0) lgkmcnt(0)                    // 0000000035B8: BF8C0000
	v_lshrrev_b32_e32 v48, 24, v6                              // 0000000035BC: 20600C98
	v_mul_i32_i24_e32 v48, s66, v48                            // 0000000035C0: 0C606042
	v_and_b32_e32 v49, 0xffffff, v6                            // 0000000035C4: 26620CFF 00FFFFFF
	v_add_u32_e32 v6, v48, v49                                 // 0000000035CC: 680C6330
	v_lshrrev_b32_e32 v48, 24, v7                              // 0000000035D0: 20600E98
	v_mul_i32_i24_e32 v48, s66, v48                            // 0000000035D4: 0C606042
	v_and_b32_e32 v49, 0xffffff, v7                            // 0000000035D8: 26620EFF 00FFFFFF
	v_add_u32_e32 v7, v48, v49                                 // 0000000035E0: 680E6330
	v_lshlrev_b32_e32 v6, 2, v6                                // 0000000035E4: 240C0C82
	v_lshlrev_b32_e32 v7, 2, v7                                // 0000000035E8: 240E0E82
	buffer_load_dword v14, v6, s[28:31], 0 offen               // 0000000035EC: E0501000 80070E06
	buffer_load_dword v15, v7, s[28:31], 0 offen               // 0000000035F4: E0501000 80070F07
	buffer_load_dword v16, v10, s[32:35], 0 offen              // 0000000035FC: E0501000 8008100A
	buffer_load_dword v17, v11, s[32:35], 0 offen              // 000000003604: E0501000 8008110B
	buffer_load_dword v18, v10, s[36:39], 0 offen              // 00000000360C: E0501000 8009120A
	buffer_load_dword v19, v11, s[36:39], 0 offen              // 000000003614: E0501000 8009130B
	buffer_load_dword v20, v8, s[40:43], 0 offen               // 00000000361C: E0501000 800A1408
	buffer_load_dword v21, v9, s[40:43], 0 offen               // 000000003624: E0501000 800A1509
	buffer_load_dword v26, s[20:23], 0 offen lds               // 00000000362C: E0511000 8005001A
	s_add_u32 m0, 0x100, s50                                   // 000000003634: 807C32FF 00000100
	buffer_load_dword v27, s[20:23], 0 offen lds               // 00000000363C: E0511000 8005001B
	s_add_u32 m0, 0x200, s50                                   // 000000003644: 807C32FF 00000200
	buffer_load_dword v28, s[20:23], 0 offen lds               // 00000000364C: E0511000 8005001C
	s_add_u32 m0, 0x300, s50                                   // 000000003654: 807C32FF 00000300
	buffer_load_dword v29, s[20:23], 0 offen lds               // 00000000365C: E0511000 8005001D
	s_add_u32 m0, 0x400, s50                                   // 000000003664: 807C32FF 00000400
	buffer_load_dword v30, s[20:23], 0 offen lds               // 00000000366C: E0511000 8005001E
	s_add_u32 m0, 0x500, s50                                   // 000000003674: 807C32FF 00000500
	buffer_load_dword v31, s[20:23], 0 offen lds               // 00000000367C: E0511000 8005001F
	s_add_u32 m0, 0x600, s50                                   // 000000003684: 807C32FF 00000600
	buffer_load_dword v32, s[20:23], 0 offen lds               // 00000000368C: E0511000 80050020
	s_add_u32 m0, 0x700, s50                                   // 000000003694: 807C32FF 00000700
	buffer_load_dword v33, s[20:23], 0 offen lds               // 00000000369C: E0511000 80050021
	s_add_u32 m0, 0, s51                                       // 0000000036A4: 807C3380
	s_add_u32 s20, s57, s20                                    // 0000000036A8: 80141439
	s_addc_u32 s21, 0, s21                                     // 0000000036AC: 82151580
	buffer_load_dword v26, s[20:23], 0 offen lds               // 0000000036B0: E0511000 8005001A
	s_add_u32 m0, 0x100, s51                                   // 0000000036B8: 807C33FF 00000100
	buffer_load_dword v27, s[20:23], 0 offen lds               // 0000000036C0: E0511000 8005001B
	s_add_u32 m0, 0x200, s51                                   // 0000000036C8: 807C33FF 00000200
	buffer_load_dword v28, s[20:23], 0 offen lds               // 0000000036D0: E0511000 8005001C
	s_add_u32 m0, 0x300, s51                                   // 0000000036D8: 807C33FF 00000300
	buffer_load_dword v29, s[20:23], 0 offen lds               // 0000000036E0: E0511000 8005001D
	s_add_u32 m0, 0x400, s51                                   // 0000000036E8: 807C33FF 00000400
	buffer_load_dword v30, s[20:23], 0 offen lds               // 0000000036F0: E0511000 8005001E
	s_add_u32 m0, 0x500, s51                                   // 0000000036F8: 807C33FF 00000500
	buffer_load_dword v31, s[20:23], 0 offen lds               // 000000003700: E0511000 8005001F
	s_add_u32 m0, 0x600, s51                                   // 000000003708: 807C33FF 00000600
	buffer_load_dword v32, s[20:23], 0 offen lds               // 000000003710: E0511000 80050020
	s_add_u32 m0, 0x700, s51                                   // 000000003718: 807C33FF 00000700
	buffer_load_dword v33, s[20:23], 0 offen lds               // 000000003720: E0511000 80050021
	s_add_u32 m0, 0, s50                                       // 000000003728: 807C3280
	s_add_u32 s20, s57, s20                                    // 00000000372C: 80141439
	s_addc_u32 s21, 0, s21                                     // 000000003730: 82151580
	buffer_load_dwordx4 a[0:3], v34, s[24:27], 0 offen         // 000000003734: E05C1000 80860022
	buffer_load_dwordx4 a[4:7], v34, s[24:27], 0 offen offset:1024// 00000000373C: E05C1400 80860422
	buffer_load_dwordx4 a[8:11], v34, s[24:27], 0 offen offset:2048// 000000003744: E05C1800 80860822
	buffer_load_dwordx4 a[12:15], v34, s[24:27], 0 offen offset:3072// 00000000374C: E05C1C00 80860C22
	buffer_load_dwordx4 a[16:19], v35, s[24:27], 0 offen       // 000000003754: E05C1000 80861023
	buffer_load_dwordx4 a[20:23], v35, s[24:27], 0 offen offset:1024// 00000000375C: E05C1400 80861423
	buffer_load_dwordx4 a[24:27], v35, s[24:27], 0 offen offset:2048// 000000003764: E05C1800 80861823
	buffer_load_dwordx4 a[28:31], v35, s[24:27], 0 offen offset:3072// 00000000376C: E05C1C00 80861C23
	buffer_load_dwordx4 a[32:35], v36, s[24:27], 0 offen       // 000000003774: E05C1000 80862024
	buffer_load_dwordx4 a[36:39], v36, s[24:27], 0 offen offset:1024// 00000000377C: E05C1400 80862424
	buffer_load_dwordx4 a[40:43], v36, s[24:27], 0 offen offset:2048// 000000003784: E05C1800 80862824
	buffer_load_dwordx4 a[44:47], v36, s[24:27], 0 offen offset:3072// 00000000378C: E05C1C00 80862C24
	buffer_load_dwordx4 a[48:51], v37, s[24:27], 0 offen       // 000000003794: E05C1000 80863025
	buffer_load_dwordx4 a[52:55], v37, s[24:27], 0 offen offset:1024// 00000000379C: E05C1400 80863425
	buffer_load_dwordx4 a[56:59], v37, s[24:27], 0 offen offset:2048// 0000000037A4: E05C1800 80863825
	buffer_load_dwordx4 a[60:63], v37, s[24:27], 0 offen offset:3072// 0000000037AC: E05C1C00 80863C25
	buffer_load_dwordx4 a[64:67], v38, s[24:27], 0 offen       // 0000000037B4: E05C1000 80864026
	buffer_load_dwordx4 a[68:71], v38, s[24:27], 0 offen offset:1024// 0000000037BC: E05C1400 80864426
	buffer_load_dwordx4 a[72:75], v38, s[24:27], 0 offen offset:2048// 0000000037C4: E05C1800 80864826
	buffer_load_dwordx4 a[76:79], v38, s[24:27], 0 offen offset:3072// 0000000037CC: E05C1C00 80864C26
	s_add_u32 s24, s58, s24                                    // 0000000037D4: 8018183A
	s_addc_u32 s25, 0, s25                                     // 0000000037D8: 82191980
	v_mov_b32_e32 v128, 0                                      // 0000000037DC: 7F000280
	v_mov_b32_e32 v129, 0                                      // 0000000037E0: 7F020280
	v_mov_b32_e32 v130, 0                                      // 0000000037E4: 7F040280
	v_mov_b32_e32 v131, 0                                      // 0000000037E8: 7F060280
	v_mov_b32_e32 v132, 0                                      // 0000000037EC: 7F080280
	v_mov_b32_e32 v133, 0                                      // 0000000037F0: 7F0A0280
	v_mov_b32_e32 v134, 0                                      // 0000000037F4: 7F0C0280
	v_mov_b32_e32 v135, 0                                      // 0000000037F8: 7F0E0280
	v_mov_b32_e32 v136, 0                                      // 0000000037FC: 7F100280
	v_mov_b32_e32 v137, 0                                      // 000000003800: 7F120280
	v_mov_b32_e32 v138, 0                                      // 000000003804: 7F140280
	v_mov_b32_e32 v139, 0                                      // 000000003808: 7F160280
	v_mov_b32_e32 v140, 0                                      // 00000000380C: 7F180280
	v_mov_b32_e32 v141, 0                                      // 000000003810: 7F1A0280
	v_mov_b32_e32 v142, 0                                      // 000000003814: 7F1C0280
	v_mov_b32_e32 v143, 0                                      // 000000003818: 7F1E0280
	v_mov_b32_e32 v144, 0                                      // 00000000381C: 7F200280
	v_mov_b32_e32 v145, 0                                      // 000000003820: 7F220280
	v_mov_b32_e32 v146, 0                                      // 000000003824: 7F240280
	v_mov_b32_e32 v147, 0                                      // 000000003828: 7F260280
	v_mov_b32_e32 v148, 0                                      // 00000000382C: 7F280280
	v_mov_b32_e32 v149, 0                                      // 000000003830: 7F2A0280
	v_mov_b32_e32 v150, 0                                      // 000000003834: 7F2C0280
	v_mov_b32_e32 v151, 0                                      // 000000003838: 7F2E0280
	v_mov_b32_e32 v152, 0                                      // 00000000383C: 7F300280
	v_mov_b32_e32 v153, 0                                      // 000000003840: 7F320280
	v_mov_b32_e32 v154, 0                                      // 000000003844: 7F340280
	v_mov_b32_e32 v155, 0                                      // 000000003848: 7F360280
	v_mov_b32_e32 v156, 0                                      // 00000000384C: 7F380280
	v_mov_b32_e32 v157, 0                                      // 000000003850: 7F3A0280
	v_mov_b32_e32 v158, 0                                      // 000000003854: 7F3C0280
	v_mov_b32_e32 v159, 0                                      // 000000003858: 7F3E0280
	v_mov_b32_e32 v160, 0                                      // 00000000385C: 7F400280
	v_mov_b32_e32 v161, 0                                      // 000000003860: 7F420280
	v_mov_b32_e32 v162, 0                                      // 000000003864: 7F440280
	v_mov_b32_e32 v163, 0                                      // 000000003868: 7F460280
	v_mov_b32_e32 v164, 0                                      // 00000000386C: 7F480280
	v_mov_b32_e32 v165, 0                                      // 000000003870: 7F4A0280
	v_mov_b32_e32 v166, 0                                      // 000000003874: 7F4C0280
	v_mov_b32_e32 v167, 0                                      // 000000003878: 7F4E0280
	v_lshrrev_b32_e32 v48, 4, v0                               // 00000000387C: 20600084
	v_mul_i32_i24_e32 v3, 34, v48                              // 000000003880: 0C0660A2
	v_and_b32_e32 v48, 15, v0                                  // 000000003884: 2660008F
	v_mul_i32_i24_e32 v49, 2, v48                              // 000000003888: 0C626082
	v_add_u32_e32 v3, v49, v3                                  // 00000000388C: 68060731
	s_mul_i32 s60, s7, 0x88                                    // 000000003890: 923CFF07 00000088
	v_add_u32_e32 v3, s60, v3                                  // 000000003898: 6806063C
	v_lshlrev_b32_e32 v3, 2, v3                                // 00000000389C: 24060682
	v_lshrrev_b32_e32 v48, 1, v0                               // 0000000038A0: 20600081
	v_mul_i32_i24_e32 v4, 34, v48                              // 0000000038A4: 0C0860A2
	v_and_b32_e32 v49, 1, v0                                   // 0000000038A8: 26620081
	v_add_u32_e32 v4, v49, v4                                  // 0000000038AC: 68080931
	s_mul_i32 s60, s7, 2                                       // 0000000038B0: 923C8207
	v_add_u32_e32 v4, s60, v4                                  // 0000000038B4: 6808083C
	v_lshlrev_b32_e32 v4, 2, v4                                // 0000000038B8: 24080882
	s_waitcnt vmcnt(28)                                        // 0000000038BC: BF8C4F7C
	s_barrier                                                  // 0000000038C0: BF8A0000
	ds_read_b128 v[168:171], v2                                // 0000000038C4: D9FE0000 A8000002
	ds_read_b128 v[172:175], v2 offset:64                      // 0000000038CC: D9FE0040 AC000002
	ds_read_b128 v[176:179], v2 offset:128                     // 0000000038D4: D9FE0080 B0000002
	ds_read_b128 v[180:183], v2 offset:192                     // 0000000038DC: D9FE00C0 B4000002
	ds_read_b128 v[184:187], v2 offset:1024                    // 0000000038E4: D9FE0400 B8000002
	ds_read_b128 v[188:191], v2 offset:1088                    // 0000000038EC: D9FE0440 BC000002
	ds_read_b128 v[192:195], v2 offset:1152                    // 0000000038F4: D9FE0480 C0000002
	ds_read_b128 v[196:199], v2 offset:1216                    // 0000000038FC: D9FE04C0 C4000002
	s_cmp_lt_i32 s7, 2                                         // 000000003904: BF048207
	s_cbranch_scc0 label_0EE6                                  // 000000003908: BF840C23

000000000000390c <label_02C3>:
	s_waitcnt vmcnt(12) lgkmcnt(0)                             // 00000000390C: BF8C007C
	s_barrier                                                  // 000000003910: BF8A0000
	v_mfma_i32_16x16x32_i8 v[128:131], a[0:1], v[168:169], v[128:131]// 000000003914: D3D70080 0E035100
	v_mfma_i32_16x16x32_i8 v[128:131], a[2:3], v[170:171], v[128:131]// 00000000391C: D3D70080 0E035502
	buffer_load_dwordx4 a[80:83], v34, s[24:27], 0 offen       // 000000003924: E05C1000 80865022
	v_mfma_i32_16x16x32_i8 v[128:131], a[4:5], v[172:173], v[128:131]// 00000000392C: D3D70080 0E035904
	v_mfma_i32_16x16x32_i8 v[128:131], a[6:7], v[174:175], v[128:131]// 000000003934: D3D70080 0E035D06
	buffer_load_dword v26, s[20:23], 0 offen lds               // 00000000393C: E0511000 8005001A
	s_add_u32 m0, 0x100, s50                                   // 000000003944: 807C32FF 00000100
	v_mfma_i32_16x16x32_i8 v[128:131], a[8:9], v[176:177], v[128:131]// 00000000394C: D3D70080 0E036108
	v_mfma_i32_16x16x32_i8 v[128:131], a[10:11], v[178:179], v[128:131]// 000000003954: D3D70080 0E03650A
	buffer_load_dwordx4 a[84:87], v34, s[24:27], 0 offen offset:1024// 00000000395C: E05C1400 80865422
	v_mfma_i32_16x16x32_i8 v[128:131], a[12:13], v[180:181], v[128:131]// 000000003964: D3D70080 0E03690C
	v_mfma_i32_16x16x32_i8 v[128:131], a[14:15], v[182:183], v[128:131]// 00000000396C: D3D70080 0E036D0E
	buffer_load_dword v27, s[20:23], 0 offen lds               // 000000003974: E0511000 8005001B
	s_add_u32 m0, 0x200, s50                                   // 00000000397C: 807C32FF 00000200
	v_mfma_i32_16x16x32_i8 v[132:135], a[0:1], v[184:185], v[132:135]// 000000003984: D3D70084 0E137100
	v_mfma_i32_16x16x32_i8 v[132:135], a[2:3], v[186:187], v[132:135]// 00000000398C: D3D70084 0E137502
	buffer_load_dwordx4 a[88:91], v34, s[24:27], 0 offen offset:2048// 000000003994: E05C1800 80865822
	v_mfma_i32_16x16x32_i8 v[132:135], a[4:5], v[188:189], v[132:135]// 00000000399C: D3D70084 0E137904
	v_mfma_i32_16x16x32_i8 v[132:135], a[6:7], v[190:191], v[132:135]// 0000000039A4: D3D70084 0E137D06
	buffer_load_dword v28, s[20:23], 0 offen lds               // 0000000039AC: E0511000 8005001C
	s_add_u32 m0, 0x300, s50                                   // 0000000039B4: 807C32FF 00000300
	v_mfma_i32_16x16x32_i8 v[132:135], a[8:9], v[192:193], v[132:135]// 0000000039BC: D3D70084 0E138108
	v_mfma_i32_16x16x32_i8 v[132:135], a[10:11], v[194:195], v[132:135]// 0000000039C4: D3D70084 0E13850A
	buffer_load_dwordx4 a[92:95], v34, s[24:27], 0 offen offset:3072// 0000000039CC: E05C1C00 80865C22
	v_mfma_i32_16x16x32_i8 v[132:135], a[12:13], v[196:197], v[132:135]// 0000000039D4: D3D70084 0E13890C
	v_mfma_i32_16x16x32_i8 v[132:135], a[14:15], v[198:199], v[132:135]// 0000000039DC: D3D70084 0E138D0E
	buffer_load_dword v29, s[20:23], 0 offen lds               // 0000000039E4: E0511000 8005001D
	s_add_u32 m0, 0x400, s50                                   // 0000000039EC: 807C32FF 00000400
	v_mfma_i32_16x16x32_i8 v[136:139], a[16:17], v[168:169], v[136:139]// 0000000039F4: D3D70088 0E235110
	v_mfma_i32_16x16x32_i8 v[136:139], a[18:19], v[170:171], v[136:139]// 0000000039FC: D3D70088 0E235512
	buffer_load_dwordx4 a[96:99], v35, s[24:27], 0 offen       // 000000003A04: E05C1000 80866023
	v_mfma_i32_16x16x32_i8 v[136:139], a[20:21], v[172:173], v[136:139]// 000000003A0C: D3D70088 0E235914
	v_mfma_i32_16x16x32_i8 v[136:139], a[22:23], v[174:175], v[136:139]// 000000003A14: D3D70088 0E235D16
	buffer_load_dword v30, s[20:23], 0 offen lds               // 000000003A1C: E0511000 8005001E
	s_add_u32 m0, 0x500, s50                                   // 000000003A24: 807C32FF 00000500
	v_mfma_i32_16x16x32_i8 v[136:139], a[24:25], v[176:177], v[136:139]// 000000003A2C: D3D70088 0E236118
	v_mfma_i32_16x16x32_i8 v[136:139], a[26:27], v[178:179], v[136:139]// 000000003A34: D3D70088 0E23651A
	buffer_load_dwordx4 a[100:103], v35, s[24:27], 0 offen offset:1024// 000000003A3C: E05C1400 80866423
	v_mfma_i32_16x16x32_i8 v[136:139], a[28:29], v[180:181], v[136:139]// 000000003A44: D3D70088 0E23691C
	v_mfma_i32_16x16x32_i8 v[136:139], a[30:31], v[182:183], v[136:139]// 000000003A4C: D3D70088 0E236D1E
	buffer_load_dword v31, s[20:23], 0 offen lds               // 000000003A54: E0511000 8005001F
	s_add_u32 m0, 0x600, s50                                   // 000000003A5C: 807C32FF 00000600
	v_mfma_i32_16x16x32_i8 v[140:143], a[16:17], v[184:185], v[140:143]// 000000003A64: D3D7008C 0E337110
	v_mfma_i32_16x16x32_i8 v[140:143], a[18:19], v[186:187], v[140:143]// 000000003A6C: D3D7008C 0E337512
	buffer_load_dwordx4 a[104:107], v35, s[24:27], 0 offen offset:2048// 000000003A74: E05C1800 80866823
	v_mfma_i32_16x16x32_i8 v[140:143], a[20:21], v[188:189], v[140:143]// 000000003A7C: D3D7008C 0E337914
	v_mfma_i32_16x16x32_i8 v[140:143], a[22:23], v[190:191], v[140:143]// 000000003A84: D3D7008C 0E337D16
	buffer_load_dword v32, s[20:23], 0 offen lds               // 000000003A8C: E0511000 80050020
	s_add_u32 m0, 0x700, s50                                   // 000000003A94: 807C32FF 00000700
	v_mfma_i32_16x16x32_i8 v[140:143], a[24:25], v[192:193], v[140:143]// 000000003A9C: D3D7008C 0E338118
	v_mfma_i32_16x16x32_i8 v[140:143], a[26:27], v[194:195], v[140:143]// 000000003AA4: D3D7008C 0E33851A
	buffer_load_dwordx4 a[108:111], v35, s[24:27], 0 offen offset:3072// 000000003AAC: E05C1C00 80866C23
	v_mfma_i32_16x16x32_i8 v[140:143], a[28:29], v[196:197], v[140:143]// 000000003AB4: D3D7008C 0E33891C
	v_mfma_i32_16x16x32_i8 v[140:143], a[30:31], v[198:199], v[140:143]// 000000003ABC: D3D7008C 0E338D1E
	buffer_load_dword v33, s[20:23], 0 offen lds               // 000000003AC4: E0511000 80050021
	s_add_u32 m0, 0, s51                                       // 000000003ACC: 807C3380
	s_waitcnt vmcnt(24)                                        // 000000003AD0: BF8C4F78
	v_mfma_i32_16x16x32_i8 v[144:147], a[32:33], v[168:169], v[144:147]// 000000003AD4: D3D70090 0E435120
	v_mfma_i32_16x16x32_i8 v[144:147], a[34:35], v[170:171], v[144:147]// 000000003ADC: D3D70090 0E435522
	buffer_load_dwordx4 a[112:115], v36, s[24:27], 0 offen     // 000000003AE4: E05C1000 80867024
	v_mfma_i32_16x16x32_i8 v[144:147], a[36:37], v[172:173], v[144:147]// 000000003AEC: D3D70090 0E435924
	v_mfma_i32_16x16x32_i8 v[144:147], a[38:39], v[174:175], v[144:147]// 000000003AF4: D3D70090 0E435D26
	ds_read_b128 v[200:203], v2 offset:8320                    // 000000003AFC: D9FE2080 C8000002
	v_mfma_i32_16x16x32_i8 v[144:147], a[40:41], v[176:177], v[144:147]// 000000003B04: D3D70090 0E436128
	v_mfma_i32_16x16x32_i8 v[144:147], a[42:43], v[178:179], v[144:147]// 000000003B0C: D3D70090 0E43652A
	buffer_load_dwordx4 a[116:119], v36, s[24:27], 0 offen offset:1024// 000000003B14: E05C1400 80867424
	v_mfma_i32_16x16x32_i8 v[144:147], a[44:45], v[180:181], v[144:147]// 000000003B1C: D3D70090 0E43692C
	v_mfma_i32_16x16x32_i8 v[144:147], a[46:47], v[182:183], v[144:147]// 000000003B24: D3D70090 0E436D2E
	ds_read_b128 v[204:207], v2 offset:8384                    // 000000003B2C: D9FE20C0 CC000002
	v_mfma_i32_16x16x32_i8 v[148:151], a[32:33], v[184:185], v[148:151]// 000000003B34: D3D70094 0E537120
	v_mfma_i32_16x16x32_i8 v[148:151], a[34:35], v[186:187], v[148:151]// 000000003B3C: D3D70094 0E537522
	buffer_load_dwordx4 a[120:123], v36, s[24:27], 0 offen offset:2048// 000000003B44: E05C1800 80867824
	v_mfma_i32_16x16x32_i8 v[148:151], a[36:37], v[188:189], v[148:151]// 000000003B4C: D3D70094 0E537924
	v_mfma_i32_16x16x32_i8 v[148:151], a[38:39], v[190:191], v[148:151]// 000000003B54: D3D70094 0E537D26
	ds_read_b128 v[208:211], v2 offset:8448                    // 000000003B5C: D9FE2100 D0000002
	v_mfma_i32_16x16x32_i8 v[148:151], a[40:41], v[192:193], v[148:151]// 000000003B64: D3D70094 0E538128
	v_mfma_i32_16x16x32_i8 v[148:151], a[42:43], v[194:195], v[148:151]// 000000003B6C: D3D70094 0E53852A
	buffer_load_dwordx4 a[124:127], v36, s[24:27], 0 offen offset:3072// 000000003B74: E05C1C00 80867C24
	v_mfma_i32_16x16x32_i8 v[148:151], a[44:45], v[196:197], v[148:151]// 000000003B7C: D3D70094 0E53892C
	v_mfma_i32_16x16x32_i8 v[148:151], a[46:47], v[198:199], v[148:151]// 000000003B84: D3D70094 0E538D2E
	ds_read_b128 v[212:215], v2 offset:8512                    // 000000003B8C: D9FE2140 D4000002
	s_waitcnt vmcnt(24)                                        // 000000003B94: BF8C4F78
	v_mfma_i32_16x16x32_i8 v[152:155], a[48:49], v[168:169], v[152:155]// 000000003B98: D3D70098 0E635130
	v_mfma_i32_16x16x32_i8 v[152:155], a[50:51], v[170:171], v[152:155]// 000000003BA0: D3D70098 0E635532
	buffer_load_dwordx4 a[128:131], v37, s[24:27], 0 offen     // 000000003BA8: E05C1000 80868025
	v_mfma_i32_16x16x32_i8 v[152:155], a[52:53], v[172:173], v[152:155]// 000000003BB0: D3D70098 0E635934
	v_mfma_i32_16x16x32_i8 v[152:155], a[54:55], v[174:175], v[152:155]// 000000003BB8: D3D70098 0E635D36
	ds_read_b128 v[216:219], v2 offset:9344                    // 000000003BC0: D9FE2480 D8000002
	v_mfma_i32_16x16x32_i8 v[152:155], a[56:57], v[176:177], v[152:155]// 000000003BC8: D3D70098 0E636138
	v_mfma_i32_16x16x32_i8 v[152:155], a[58:59], v[178:179], v[152:155]// 000000003BD0: D3D70098 0E63653A
	buffer_load_dwordx4 a[132:135], v37, s[24:27], 0 offen offset:1024// 000000003BD8: E05C1400 80868425
	v_mfma_i32_16x16x32_i8 v[152:155], a[60:61], v[180:181], v[152:155]// 000000003BE0: D3D70098 0E63693C
	v_mfma_i32_16x16x32_i8 v[152:155], a[62:63], v[182:183], v[152:155]// 000000003BE8: D3D70098 0E636D3E
	ds_read_b128 v[220:223], v2 offset:9408                    // 000000003BF0: D9FE24C0 DC000002
	v_mfma_i32_16x16x32_i8 v[156:159], a[48:49], v[184:185], v[156:159]// 000000003BF8: D3D7009C 0E737130
	v_mfma_i32_16x16x32_i8 v[156:159], a[50:51], v[186:187], v[156:159]// 000000003C00: D3D7009C 0E737532
	buffer_load_dwordx4 a[136:139], v37, s[24:27], 0 offen offset:2048// 000000003C08: E05C1800 80868825
	v_mfma_i32_16x16x32_i8 v[156:159], a[52:53], v[188:189], v[156:159]// 000000003C10: D3D7009C 0E737934
	v_mfma_i32_16x16x32_i8 v[156:159], a[54:55], v[190:191], v[156:159]// 000000003C18: D3D7009C 0E737D36
	ds_read_b128 v[224:227], v2 offset:9472                    // 000000003C20: D9FE2500 E0000002
	v_mfma_i32_16x16x32_i8 v[156:159], a[56:57], v[192:193], v[156:159]// 000000003C28: D3D7009C 0E738138
	v_mfma_i32_16x16x32_i8 v[156:159], a[58:59], v[194:195], v[156:159]// 000000003C30: D3D7009C 0E73853A
	buffer_load_dwordx4 a[140:143], v37, s[24:27], 0 offen offset:3072// 000000003C38: E05C1C00 80868C25
	v_mfma_i32_16x16x32_i8 v[156:159], a[60:61], v[196:197], v[156:159]// 000000003C40: D3D7009C 0E73893C
	v_mfma_i32_16x16x32_i8 v[156:159], a[62:63], v[198:199], v[156:159]// 000000003C48: D3D7009C 0E738D3E
	ds_read_b128 v[228:231], v2 offset:9536                    // 000000003C50: D9FE2540 E4000002
	s_waitcnt vmcnt(24)                                        // 000000003C58: BF8C4F78
	v_mfma_i32_16x16x32_i8 v[160:163], a[64:65], v[168:169], v[160:163]// 000000003C5C: D3D700A0 0E835140
	v_mfma_i32_16x16x32_i8 v[160:163], a[66:67], v[170:171], v[160:163]// 000000003C64: D3D700A0 0E835542
	buffer_load_dwordx4 a[144:147], v38, s[24:27], 0 offen     // 000000003C6C: E05C1000 80869026
	v_mfma_i32_16x16x32_i8 v[160:163], a[68:69], v[172:173], v[160:163]// 000000003C74: D3D700A0 0E835944
	v_mfma_i32_16x16x32_i8 v[160:163], a[70:71], v[174:175], v[160:163]// 000000003C7C: D3D700A0 0E835D46
	v_mfma_i32_16x16x32_i8 v[160:163], a[72:73], v[176:177], v[160:163]// 000000003C84: D3D700A0 0E836148
	v_mfma_i32_16x16x32_i8 v[160:163], a[74:75], v[178:179], v[160:163]// 000000003C8C: D3D700A0 0E83654A
	buffer_load_dwordx4 a[148:151], v38, s[24:27], 0 offen offset:1024// 000000003C94: E05C1400 80869426
	v_mfma_i32_16x16x32_i8 v[160:163], a[76:77], v[180:181], v[160:163]// 000000003C9C: D3D700A0 0E83694C
	v_mfma_i32_16x16x32_i8 v[160:163], a[78:79], v[182:183], v[160:163]// 000000003CA4: D3D700A0 0E836D4E
	v_mfma_i32_16x16x32_i8 v[164:167], a[64:65], v[184:185], v[164:167]// 000000003CAC: D3D700A4 0E937140
	v_mfma_i32_16x16x32_i8 v[164:167], a[66:67], v[186:187], v[164:167]// 000000003CB4: D3D700A4 0E937542
	buffer_load_dwordx4 a[152:155], v38, s[24:27], 0 offen offset:2048// 000000003CBC: E05C1800 80869826
	v_mfma_i32_16x16x32_i8 v[164:167], a[68:69], v[188:189], v[164:167]// 000000003CC4: D3D700A4 0E937944
	v_mfma_i32_16x16x32_i8 v[164:167], a[70:71], v[190:191], v[164:167]// 000000003CCC: D3D700A4 0E937D46
	v_mfma_i32_16x16x32_i8 v[164:167], a[72:73], v[192:193], v[164:167]// 000000003CD4: D3D700A4 0E938148
	v_mfma_i32_16x16x32_i8 v[164:167], a[74:75], v[194:195], v[164:167]// 000000003CDC: D3D700A4 0E93854A
	buffer_load_dwordx4 a[156:159], v38, s[24:27], 0 offen offset:3072// 000000003CE4: E05C1C00 80869C26
	v_mfma_i32_16x16x32_i8 v[164:167], a[76:77], v[196:197], v[164:167]// 000000003CEC: D3D700A4 0E93894C
	v_mfma_i32_16x16x32_i8 v[164:167], a[78:79], v[198:199], v[164:167]// 000000003CF4: D3D700A4 0E938D4E
	s_add_u32 s60, 0x300, s80                                  // 000000003CFC: 803C50FF 00000300
	s_cmp_lt_u32 s60, s81                                      // 000000003D04: BF0A513C
	s_cselect_b32 s57, s57, 0                                  // 000000003D08: 85398039
	s_add_u32 s60, 0x200, s80                                  // 000000003D0C: 803C50FF 00000200
	s_cmp_lt_u32 s60, s81                                      // 000000003D14: BF0A513C
	s_cselect_b32 s58, s58, 0                                  // 000000003D18: 853A803A
	s_add_u32 s20, s57, s20                                    // 000000003D1C: 80141439
	s_addc_u32 s21, 0, s21                                     // 000000003D20: 82151580
	s_add_u32 s24, s58, s24                                    // 000000003D24: 8018183A
	s_addc_u32 s25, 0, s25                                     // 000000003D28: 82191980
	s_addk_i32 s80, 0x100                                      // 000000003D2C: B7500100
	s_cmp_lt_i32 s80, s81                                      // 000000003D30: BF045150
	s_cbranch_scc0 label_04DA                                  // 000000003D34: BF84010C
	s_waitcnt vmcnt(12) lgkmcnt(0)                             // 000000003D38: BF8C007C
	s_barrier                                                  // 000000003D3C: BF8A0000
	v_mfma_i32_16x16x32_i8 v[128:131], a[80:81], v[200:201], v[128:131]// 000000003D40: D3D70080 0E039150
	v_mfma_i32_16x16x32_i8 v[128:131], a[82:83], v[202:203], v[128:131]// 000000003D48: D3D70080 0E039552
	buffer_load_dwordx4 a[0:3], v34, s[24:27], 0 offen         // 000000003D50: E05C1000 80860022
	v_mfma_i32_16x16x32_i8 v[128:131], a[84:85], v[204:205], v[128:131]// 000000003D58: D3D70080 0E039954
	v_mfma_i32_16x16x32_i8 v[128:131], a[86:87], v[206:207], v[128:131]// 000000003D60: D3D70080 0E039D56
	buffer_load_dword v26, s[20:23], 0 offen lds               // 000000003D68: E0511000 8005001A
	s_add_u32 m0, 0x100, s51                                   // 000000003D70: 807C33FF 00000100
	v_mfma_i32_16x16x32_i8 v[128:131], a[88:89], v[208:209], v[128:131]// 000000003D78: D3D70080 0E03A158
	v_mfma_i32_16x16x32_i8 v[128:131], a[90:91], v[210:211], v[128:131]// 000000003D80: D3D70080 0E03A55A
	buffer_load_dwordx4 a[4:7], v34, s[24:27], 0 offen offset:1024// 000000003D88: E05C1400 80860422
	v_mfma_i32_16x16x32_i8 v[128:131], a[92:93], v[212:213], v[128:131]// 000000003D90: D3D70080 0E03A95C
	v_mfma_i32_16x16x32_i8 v[128:131], a[94:95], v[214:215], v[128:131]// 000000003D98: D3D70080 0E03AD5E
	buffer_load_dword v27, s[20:23], 0 offen lds               // 000000003DA0: E0511000 8005001B
	s_add_u32 m0, 0x200, s51                                   // 000000003DA8: 807C33FF 00000200
	v_mfma_i32_16x16x32_i8 v[132:135], a[80:81], v[216:217], v[132:135]// 000000003DB0: D3D70084 0E13B150
	v_mfma_i32_16x16x32_i8 v[132:135], a[82:83], v[218:219], v[132:135]// 000000003DB8: D3D70084 0E13B552
	buffer_load_dwordx4 a[8:11], v34, s[24:27], 0 offen offset:2048// 000000003DC0: E05C1800 80860822
	v_mfma_i32_16x16x32_i8 v[132:135], a[84:85], v[220:221], v[132:135]// 000000003DC8: D3D70084 0E13B954
	v_mfma_i32_16x16x32_i8 v[132:135], a[86:87], v[222:223], v[132:135]// 000000003DD0: D3D70084 0E13BD56
	buffer_load_dword v28, s[20:23], 0 offen lds               // 000000003DD8: E0511000 8005001C
	s_add_u32 m0, 0x300, s51                                   // 000000003DE0: 807C33FF 00000300
	v_mfma_i32_16x16x32_i8 v[132:135], a[88:89], v[224:225], v[132:135]// 000000003DE8: D3D70084 0E13C158
	v_mfma_i32_16x16x32_i8 v[132:135], a[90:91], v[226:227], v[132:135]// 000000003DF0: D3D70084 0E13C55A
	buffer_load_dwordx4 a[12:15], v34, s[24:27], 0 offen offset:3072// 000000003DF8: E05C1C00 80860C22
	v_mfma_i32_16x16x32_i8 v[132:135], a[92:93], v[228:229], v[132:135]// 000000003E00: D3D70084 0E13C95C
	v_mfma_i32_16x16x32_i8 v[132:135], a[94:95], v[230:231], v[132:135]// 000000003E08: D3D70084 0E13CD5E
	buffer_load_dword v29, s[20:23], 0 offen lds               // 000000003E10: E0511000 8005001D
	s_add_u32 m0, 0x400, s51                                   // 000000003E18: 807C33FF 00000400
	v_mfma_i32_16x16x32_i8 v[136:139], a[96:97], v[200:201], v[136:139]// 000000003E20: D3D70088 0E239160
	v_mfma_i32_16x16x32_i8 v[136:139], a[98:99], v[202:203], v[136:139]// 000000003E28: D3D70088 0E239562
	buffer_load_dwordx4 a[16:19], v35, s[24:27], 0 offen       // 000000003E30: E05C1000 80861023
	v_mfma_i32_16x16x32_i8 v[136:139], a[100:101], v[204:205], v[136:139]// 000000003E38: D3D70088 0E239964
	v_mfma_i32_16x16x32_i8 v[136:139], a[102:103], v[206:207], v[136:139]// 000000003E40: D3D70088 0E239D66
	buffer_load_dword v30, s[20:23], 0 offen lds               // 000000003E48: E0511000 8005001E
	s_add_u32 m0, 0x500, s51                                   // 000000003E50: 807C33FF 00000500
	v_mfma_i32_16x16x32_i8 v[136:139], a[104:105], v[208:209], v[136:139]// 000000003E58: D3D70088 0E23A168
	v_mfma_i32_16x16x32_i8 v[136:139], a[106:107], v[210:211], v[136:139]// 000000003E60: D3D70088 0E23A56A
	buffer_load_dwordx4 a[20:23], v35, s[24:27], 0 offen offset:1024// 000000003E68: E05C1400 80861423
	v_mfma_i32_16x16x32_i8 v[136:139], a[108:109], v[212:213], v[136:139]// 000000003E70: D3D70088 0E23A96C
	v_mfma_i32_16x16x32_i8 v[136:139], a[110:111], v[214:215], v[136:139]// 000000003E78: D3D70088 0E23AD6E
	buffer_load_dword v31, s[20:23], 0 offen lds               // 000000003E80: E0511000 8005001F
	s_add_u32 m0, 0x600, s51                                   // 000000003E88: 807C33FF 00000600
	v_mfma_i32_16x16x32_i8 v[140:143], a[96:97], v[216:217], v[140:143]// 000000003E90: D3D7008C 0E33B160
	v_mfma_i32_16x16x32_i8 v[140:143], a[98:99], v[218:219], v[140:143]// 000000003E98: D3D7008C 0E33B562
	buffer_load_dwordx4 a[24:27], v35, s[24:27], 0 offen offset:2048// 000000003EA0: E05C1800 80861823
	v_mfma_i32_16x16x32_i8 v[140:143], a[100:101], v[220:221], v[140:143]// 000000003EA8: D3D7008C 0E33B964
	v_mfma_i32_16x16x32_i8 v[140:143], a[102:103], v[222:223], v[140:143]// 000000003EB0: D3D7008C 0E33BD66
	buffer_load_dword v32, s[20:23], 0 offen lds               // 000000003EB8: E0511000 80050020
	s_add_u32 m0, 0x700, s51                                   // 000000003EC0: 807C33FF 00000700
	v_mfma_i32_16x16x32_i8 v[140:143], a[104:105], v[224:225], v[140:143]// 000000003EC8: D3D7008C 0E33C168
	v_mfma_i32_16x16x32_i8 v[140:143], a[106:107], v[226:227], v[140:143]// 000000003ED0: D3D7008C 0E33C56A
	buffer_load_dwordx4 a[28:31], v35, s[24:27], 0 offen offset:3072// 000000003ED8: E05C1C00 80861C23
	v_mfma_i32_16x16x32_i8 v[140:143], a[108:109], v[228:229], v[140:143]// 000000003EE0: D3D7008C 0E33C96C
	v_mfma_i32_16x16x32_i8 v[140:143], a[110:111], v[230:231], v[140:143]// 000000003EE8: D3D7008C 0E33CD6E
	buffer_load_dword v33, s[20:23], 0 offen lds               // 000000003EF0: E0511000 80050021
	s_add_u32 m0, 0, s50                                       // 000000003EF8: 807C3280
	s_waitcnt vmcnt(24)                                        // 000000003EFC: BF8C4F78
	v_mfma_i32_16x16x32_i8 v[144:147], a[112:113], v[200:201], v[144:147]// 000000003F00: D3D70090 0E439170
	v_mfma_i32_16x16x32_i8 v[144:147], a[114:115], v[202:203], v[144:147]// 000000003F08: D3D70090 0E439572
	buffer_load_dwordx4 a[32:35], v36, s[24:27], 0 offen       // 000000003F10: E05C1000 80862024
	v_mfma_i32_16x16x32_i8 v[144:147], a[116:117], v[204:205], v[144:147]// 000000003F18: D3D70090 0E439974
	v_mfma_i32_16x16x32_i8 v[144:147], a[118:119], v[206:207], v[144:147]// 000000003F20: D3D70090 0E439D76
	ds_read_b128 v[168:171], v2                                // 000000003F28: D9FE0000 A8000002
	v_mfma_i32_16x16x32_i8 v[144:147], a[120:121], v[208:209], v[144:147]// 000000003F30: D3D70090 0E43A178
	v_mfma_i32_16x16x32_i8 v[144:147], a[122:123], v[210:211], v[144:147]// 000000003F38: D3D70090 0E43A57A
	buffer_load_dwordx4 a[36:39], v36, s[24:27], 0 offen offset:1024// 000000003F40: E05C1400 80862424
	v_mfma_i32_16x16x32_i8 v[144:147], a[124:125], v[212:213], v[144:147]// 000000003F48: D3D70090 0E43A97C
	v_mfma_i32_16x16x32_i8 v[144:147], a[126:127], v[214:215], v[144:147]// 000000003F50: D3D70090 0E43AD7E
	ds_read_b128 v[172:175], v2 offset:64                      // 000000003F58: D9FE0040 AC000002
	v_mfma_i32_16x16x32_i8 v[148:151], a[112:113], v[216:217], v[148:151]// 000000003F60: D3D70094 0E53B170
	v_mfma_i32_16x16x32_i8 v[148:151], a[114:115], v[218:219], v[148:151]// 000000003F68: D3D70094 0E53B572
	buffer_load_dwordx4 a[40:43], v36, s[24:27], 0 offen offset:2048// 000000003F70: E05C1800 80862824
	v_mfma_i32_16x16x32_i8 v[148:151], a[116:117], v[220:221], v[148:151]// 000000003F78: D3D70094 0E53B974
	v_mfma_i32_16x16x32_i8 v[148:151], a[118:119], v[222:223], v[148:151]// 000000003F80: D3D70094 0E53BD76
	ds_read_b128 v[176:179], v2 offset:128                     // 000000003F88: D9FE0080 B0000002
	v_mfma_i32_16x16x32_i8 v[148:151], a[120:121], v[224:225], v[148:151]// 000000003F90: D3D70094 0E53C178
	v_mfma_i32_16x16x32_i8 v[148:151], a[122:123], v[226:227], v[148:151]// 000000003F98: D3D70094 0E53C57A
	buffer_load_dwordx4 a[44:47], v36, s[24:27], 0 offen offset:3072// 000000003FA0: E05C1C00 80862C24
	v_mfma_i32_16x16x32_i8 v[148:151], a[124:125], v[228:229], v[148:151]// 000000003FA8: D3D70094 0E53C97C
	v_mfma_i32_16x16x32_i8 v[148:151], a[126:127], v[230:231], v[148:151]// 000000003FB0: D3D70094 0E53CD7E
	ds_read_b128 v[180:183], v2 offset:192                     // 000000003FB8: D9FE00C0 B4000002
	s_waitcnt vmcnt(24)                                        // 000000003FC0: BF8C4F78
	v_mfma_i32_16x16x32_i8 v[152:155], a[128:129], v[200:201], v[152:155]// 000000003FC4: D3D70098 0E639180
	v_mfma_i32_16x16x32_i8 v[152:155], a[130:131], v[202:203], v[152:155]// 000000003FCC: D3D70098 0E639582
	buffer_load_dwordx4 a[48:51], v37, s[24:27], 0 offen       // 000000003FD4: E05C1000 80863025
	v_mfma_i32_16x16x32_i8 v[152:155], a[132:133], v[204:205], v[152:155]// 000000003FDC: D3D70098 0E639984
	v_mfma_i32_16x16x32_i8 v[152:155], a[134:135], v[206:207], v[152:155]// 000000003FE4: D3D70098 0E639D86
	ds_read_b128 v[184:187], v2 offset:1024                    // 000000003FEC: D9FE0400 B8000002
	v_mfma_i32_16x16x32_i8 v[152:155], a[136:137], v[208:209], v[152:155]// 000000003FF4: D3D70098 0E63A188
	v_mfma_i32_16x16x32_i8 v[152:155], a[138:139], v[210:211], v[152:155]// 000000003FFC: D3D70098 0E63A58A
	buffer_load_dwordx4 a[52:55], v37, s[24:27], 0 offen offset:1024// 000000004004: E05C1400 80863425
	v_mfma_i32_16x16x32_i8 v[152:155], a[140:141], v[212:213], v[152:155]// 00000000400C: D3D70098 0E63A98C
	v_mfma_i32_16x16x32_i8 v[152:155], a[142:143], v[214:215], v[152:155]// 000000004014: D3D70098 0E63AD8E
	ds_read_b128 v[188:191], v2 offset:1088                    // 00000000401C: D9FE0440 BC000002
	v_mfma_i32_16x16x32_i8 v[156:159], a[128:129], v[216:217], v[156:159]// 000000004024: D3D7009C 0E73B180
	v_mfma_i32_16x16x32_i8 v[156:159], a[130:131], v[218:219], v[156:159]// 00000000402C: D3D7009C 0E73B582
	buffer_load_dwordx4 a[56:59], v37, s[24:27], 0 offen offset:2048// 000000004034: E05C1800 80863825
	v_mfma_i32_16x16x32_i8 v[156:159], a[132:133], v[220:221], v[156:159]// 00000000403C: D3D7009C 0E73B984
	v_mfma_i32_16x16x32_i8 v[156:159], a[134:135], v[222:223], v[156:159]// 000000004044: D3D7009C 0E73BD86
	ds_read_b128 v[192:195], v2 offset:1152                    // 00000000404C: D9FE0480 C0000002
	v_mfma_i32_16x16x32_i8 v[156:159], a[136:137], v[224:225], v[156:159]// 000000004054: D3D7009C 0E73C188
	v_mfma_i32_16x16x32_i8 v[156:159], a[138:139], v[226:227], v[156:159]// 00000000405C: D3D7009C 0E73C58A
	buffer_load_dwordx4 a[60:63], v37, s[24:27], 0 offen offset:3072// 000000004064: E05C1C00 80863C25
	v_mfma_i32_16x16x32_i8 v[156:159], a[140:141], v[228:229], v[156:159]// 00000000406C: D3D7009C 0E73C98C
	v_mfma_i32_16x16x32_i8 v[156:159], a[142:143], v[230:231], v[156:159]// 000000004074: D3D7009C 0E73CD8E
	ds_read_b128 v[196:199], v2 offset:1216                    // 00000000407C: D9FE04C0 C4000002
	s_waitcnt vmcnt(24)                                        // 000000004084: BF8C4F78
	v_mfma_i32_16x16x32_i8 v[160:163], a[144:145], v[200:201], v[160:163]// 000000004088: D3D700A0 0E839190
	v_mfma_i32_16x16x32_i8 v[160:163], a[146:147], v[202:203], v[160:163]// 000000004090: D3D700A0 0E839592
	buffer_load_dwordx4 a[64:67], v38, s[24:27], 0 offen       // 000000004098: E05C1000 80864026
	v_mfma_i32_16x16x32_i8 v[160:163], a[148:149], v[204:205], v[160:163]// 0000000040A0: D3D700A0 0E839994
	v_mfma_i32_16x16x32_i8 v[160:163], a[150:151], v[206:207], v[160:163]// 0000000040A8: D3D700A0 0E839D96
	v_mfma_i32_16x16x32_i8 v[160:163], a[152:153], v[208:209], v[160:163]// 0000000040B0: D3D700A0 0E83A198
	v_mfma_i32_16x16x32_i8 v[160:163], a[154:155], v[210:211], v[160:163]// 0000000040B8: D3D700A0 0E83A59A
	buffer_load_dwordx4 a[68:71], v38, s[24:27], 0 offen offset:1024// 0000000040C0: E05C1400 80864426
	v_mfma_i32_16x16x32_i8 v[160:163], a[156:157], v[212:213], v[160:163]// 0000000040C8: D3D700A0 0E83A99C
	v_mfma_i32_16x16x32_i8 v[160:163], a[158:159], v[214:215], v[160:163]// 0000000040D0: D3D700A0 0E83AD9E
	v_mfma_i32_16x16x32_i8 v[164:167], a[144:145], v[216:217], v[164:167]// 0000000040D8: D3D700A4 0E93B190
	v_mfma_i32_16x16x32_i8 v[164:167], a[146:147], v[218:219], v[164:167]// 0000000040E0: D3D700A4 0E93B592
	buffer_load_dwordx4 a[72:75], v38, s[24:27], 0 offen offset:2048// 0000000040E8: E05C1800 80864826
	v_mfma_i32_16x16x32_i8 v[164:167], a[148:149], v[220:221], v[164:167]// 0000000040F0: D3D700A4 0E93B994
	v_mfma_i32_16x16x32_i8 v[164:167], a[150:151], v[222:223], v[164:167]// 0000000040F8: D3D700A4 0E93BD96
	v_mfma_i32_16x16x32_i8 v[164:167], a[152:153], v[224:225], v[164:167]// 000000004100: D3D700A4 0E93C198
	v_mfma_i32_16x16x32_i8 v[164:167], a[154:155], v[226:227], v[164:167]// 000000004108: D3D700A4 0E93C59A
	buffer_load_dwordx4 a[76:79], v38, s[24:27], 0 offen offset:3072// 000000004110: E05C1C00 80864C26
	v_mfma_i32_16x16x32_i8 v[164:167], a[156:157], v[228:229], v[164:167]// 000000004118: D3D700A4 0E93C99C
	v_mfma_i32_16x16x32_i8 v[164:167], a[158:159], v[230:231], v[164:167]// 000000004120: D3D700A4 0E93CD9E
	s_add_u32 s60, 0x300, s80                                  // 000000004128: 803C50FF 00000300
	s_cmp_lt_u32 s60, s81                                      // 000000004130: BF0A513C
	s_cselect_b32 s57, s57, 0                                  // 000000004134: 85398039
	s_add_u32 s60, 0x200, s80                                  // 000000004138: 803C50FF 00000200
	s_cmp_lt_u32 s60, s81                                      // 000000004140: BF0A513C
	s_cselect_b32 s58, s58, 0                                  // 000000004144: 853A803A
	s_add_u32 s20, s57, s20                                    // 000000004148: 80141439
	s_addc_u32 s21, 0, s21                                     // 00000000414C: 82151580
	s_add_u32 s24, s58, s24                                    // 000000004150: 8018183A
	s_addc_u32 s25, 0, s25                                     // 000000004154: 82191980
	s_addk_i32 s80, 0x100                                      // 000000004158: B7500100
	s_cmp_lt_i32 s80, s81                                      // 00000000415C: BF045150
	s_cbranch_scc0 label_04DA                                  // 000000004160: BF840001
	s_branch label_02C3                                        // 000000004164: BF82FDE9

0000000000004168 <label_04DA>:
	s_mov_b32 s36, -1                                          // 000000004168: BEA400C1
	s_mov_b32 s37, -1                                          // 00000000416C: BEA500C1
	s_mov_b64 s[60:61], 0                                      // 000000004170: BEBC0180
	s_cmp_lt_u32 s82, s66                                      // 000000004174: BF0A4252
	s_cselect_b64 s[20:21], s[36:37], s[60:61]                 // 000000004178: 85943C24
	s_cmp_lt_u32 s83, s66                                      // 00000000417C: BF0A4253
	s_cselect_b64 s[22:23], s[36:37], s[60:61]                 // 000000004180: 85963C24
	s_cmp_lt_u32 s84, s66                                      // 000000004184: BF0A4254
	s_cselect_b64 s[24:25], s[36:37], s[60:61]                 // 000000004188: 85983C24
	s_cmp_lt_u32 s85, s66                                      // 00000000418C: BF0A4255
	s_cselect_b64 s[26:27], s[36:37], s[60:61]                 // 000000004190: 859A3C24
	s_cmp_lt_u32 s86, s66                                      // 000000004194: BF0A4256
	s_cselect_b64 s[28:29], s[36:37], s[60:61]                 // 000000004198: 859C3C24
	s_cmp_lt_u32 s87, s66                                      // 00000000419C: BF0A4257
	s_cselect_b64 s[30:31], s[36:37], s[60:61]                 // 0000000041A0: 859E3C24
	s_cmp_lt_u32 s88, s66                                      // 0000000041A4: BF0A4258
	s_cselect_b64 s[32:33], s[36:37], s[60:61]                 // 0000000041A8: 85A03C24
	s_cmp_lt_u32 s89, s66                                      // 0000000041AC: BF0A4259
	s_cselect_b64 s[34:35], s[36:37], s[60:61]                 // 0000000041B0: 85A23C24
	v_cvt_f32_i32_e32 v128, v128                               // 0000000041B4: 7F000B80
	v_cvt_f32_i32_e32 v129, v129                               // 0000000041B8: 7F020B81
	v_cvt_f32_i32_e32 v130, v130                               // 0000000041BC: 7F040B82
	v_cvt_f32_i32_e32 v131, v131                               // 0000000041C0: 7F060B83
	v_mul_f32_e32 v128, v14, v128                              // 0000000041C4: 0B01010E
	v_mul_f32_e32 v129, v14, v129                              // 0000000041C8: 0B03030E
	v_mul_f32_e32 v130, v14, v130                              // 0000000041CC: 0B05050E
	v_mul_f32_e32 v131, v14, v131                              // 0000000041D0: 0B07070E
	v_mul_f32_dpp v128, v16, v128 row_newbcast:0 row_mask:0xf bank_mask:0xf// 0000000041D4: 0B0100FA FF015010
	v_mul_f32_dpp v129, v16, v129 row_newbcast:1 row_mask:0xf bank_mask:0xf// 0000000041DC: 0B0302FA FF015110
	v_mul_f32_dpp v130, v16, v130 row_newbcast:2 row_mask:0xf bank_mask:0xf// 0000000041E4: 0B0504FA FF015210
	v_mul_f32_dpp v131, v16, v131 row_newbcast:3 row_mask:0xf bank_mask:0xf// 0000000041EC: 0B0706FA FF015310
	v_cvt_f32_i32_e32 v132, v132                               // 0000000041F4: 7F080B84
	v_cvt_f32_i32_e32 v133, v133                               // 0000000041F8: 7F0A0B85
	v_cvt_f32_i32_e32 v134, v134                               // 0000000041FC: 7F0C0B86
	v_cvt_f32_i32_e32 v135, v135                               // 000000004200: 7F0E0B87
	v_mul_f32_e32 v132, v15, v132                              // 000000004204: 0B09090F
	v_mul_f32_e32 v133, v15, v133                              // 000000004208: 0B0B0B0F
	v_mul_f32_e32 v134, v15, v134                              // 00000000420C: 0B0D0D0F
	v_mul_f32_e32 v135, v15, v135                              // 000000004210: 0B0F0F0F
	v_mul_f32_dpp v132, v16, v132 row_newbcast:0 row_mask:0xf bank_mask:0xf// 000000004214: 0B0908FA FF015010
	v_mul_f32_dpp v133, v16, v133 row_newbcast:1 row_mask:0xf bank_mask:0xf// 00000000421C: 0B0B0AFA FF015110
	v_mul_f32_dpp v134, v16, v134 row_newbcast:2 row_mask:0xf bank_mask:0xf// 000000004224: 0B0D0CFA FF015210
	v_mul_f32_dpp v135, v16, v135 row_newbcast:3 row_mask:0xf bank_mask:0xf// 00000000422C: 0B0F0EFA FF015310
	v_cvt_f32_i32_e32 v136, v136                               // 000000004234: 7F100B88
	v_cvt_f32_i32_e32 v137, v137                               // 000000004238: 7F120B89
	v_cvt_f32_i32_e32 v138, v138                               // 00000000423C: 7F140B8A
	v_cvt_f32_i32_e32 v139, v139                               // 000000004240: 7F160B8B
	v_mul_f32_e32 v136, v14, v136                              // 000000004244: 0B11110E
	v_mul_f32_e32 v137, v14, v137                              // 000000004248: 0B13130E
	v_mul_f32_e32 v138, v14, v138                              // 00000000424C: 0B15150E
	v_mul_f32_e32 v139, v14, v139                              // 000000004250: 0B17170E
	v_mul_f32_dpp v136, v16, v136 row_newbcast:4 row_mask:0xf bank_mask:0xf// 000000004254: 0B1110FA FF015410
	v_mul_f32_dpp v137, v16, v137 row_newbcast:5 row_mask:0xf bank_mask:0xf// 00000000425C: 0B1312FA FF015510
	v_mul_f32_dpp v138, v16, v138 row_newbcast:6 row_mask:0xf bank_mask:0xf// 000000004264: 0B1514FA FF015610
	v_mul_f32_dpp v139, v16, v139 row_newbcast:7 row_mask:0xf bank_mask:0xf// 00000000426C: 0B1716FA FF015710
	v_cvt_f32_i32_e32 v140, v140                               // 000000004274: 7F180B8C
	v_cvt_f32_i32_e32 v141, v141                               // 000000004278: 7F1A0B8D
	v_cvt_f32_i32_e32 v142, v142                               // 00000000427C: 7F1C0B8E
	v_cvt_f32_i32_e32 v143, v143                               // 000000004280: 7F1E0B8F
	v_mul_f32_e32 v140, v15, v140                              // 000000004284: 0B19190F
	v_mul_f32_e32 v141, v15, v141                              // 000000004288: 0B1B1B0F
	v_mul_f32_e32 v142, v15, v142                              // 00000000428C: 0B1D1D0F
	v_mul_f32_e32 v143, v15, v143                              // 000000004290: 0B1F1F0F
	v_mul_f32_dpp v140, v16, v140 row_newbcast:4 row_mask:0xf bank_mask:0xf// 000000004294: 0B1918FA FF015410
	v_mul_f32_dpp v141, v16, v141 row_newbcast:5 row_mask:0xf bank_mask:0xf// 00000000429C: 0B1B1AFA FF015510
	v_mul_f32_dpp v142, v16, v142 row_newbcast:6 row_mask:0xf bank_mask:0xf// 0000000042A4: 0B1D1CFA FF015610
	v_mul_f32_dpp v143, v16, v143 row_newbcast:7 row_mask:0xf bank_mask:0xf// 0000000042AC: 0B1F1EFA FF015710
	v_cvt_f32_i32_e32 v144, v144                               // 0000000042B4: 7F200B90
	v_cvt_f32_i32_e32 v145, v145                               // 0000000042B8: 7F220B91
	v_cvt_f32_i32_e32 v146, v146                               // 0000000042BC: 7F240B92
	v_cvt_f32_i32_e32 v147, v147                               // 0000000042C0: 7F260B93
	v_mul_f32_e32 v144, v14, v144                              // 0000000042C4: 0B21210E
	v_mul_f32_e32 v145, v14, v145                              // 0000000042C8: 0B23230E
	v_mul_f32_e32 v146, v14, v146                              // 0000000042CC: 0B25250E
	v_mul_f32_e32 v147, v14, v147                              // 0000000042D0: 0B27270E
	v_mul_f32_dpp v144, v16, v144 row_newbcast:8 row_mask:0xf bank_mask:0xf// 0000000042D4: 0B2120FA FF015810
	v_mul_f32_dpp v145, v16, v145 row_newbcast:9 row_mask:0xf bank_mask:0xf// 0000000042DC: 0B2322FA FF015910
	v_mul_f32_dpp v146, v16, v146 row_newbcast:10 row_mask:0xf bank_mask:0xf// 0000000042E4: 0B2524FA FF015A10
	v_mul_f32_dpp v147, v16, v147 row_newbcast:11 row_mask:0xf bank_mask:0xf// 0000000042EC: 0B2726FA FF015B10
	v_cvt_f32_i32_e32 v148, v148                               // 0000000042F4: 7F280B94
	v_cvt_f32_i32_e32 v149, v149                               // 0000000042F8: 7F2A0B95
	v_cvt_f32_i32_e32 v150, v150                               // 0000000042FC: 7F2C0B96
	v_cvt_f32_i32_e32 v151, v151                               // 000000004300: 7F2E0B97
	v_mul_f32_e32 v148, v15, v148                              // 000000004304: 0B29290F
	v_mul_f32_e32 v149, v15, v149                              // 000000004308: 0B2B2B0F
	v_mul_f32_e32 v150, v15, v150                              // 00000000430C: 0B2D2D0F
	v_mul_f32_e32 v151, v15, v151                              // 000000004310: 0B2F2F0F
	v_mul_f32_dpp v148, v16, v148 row_newbcast:8 row_mask:0xf bank_mask:0xf// 000000004314: 0B2928FA FF015810
	v_mul_f32_dpp v149, v16, v149 row_newbcast:9 row_mask:0xf bank_mask:0xf// 00000000431C: 0B2B2AFA FF015910
	v_mul_f32_dpp v150, v16, v150 row_newbcast:10 row_mask:0xf bank_mask:0xf// 000000004324: 0B2D2CFA FF015A10
	v_mul_f32_dpp v151, v16, v151 row_newbcast:11 row_mask:0xf bank_mask:0xf// 00000000432C: 0B2F2EFA FF015B10
	v_cvt_f32_i32_e32 v152, v152                               // 000000004334: 7F300B98
	v_cvt_f32_i32_e32 v153, v153                               // 000000004338: 7F320B99
	v_cvt_f32_i32_e32 v154, v154                               // 00000000433C: 7F340B9A
	v_cvt_f32_i32_e32 v155, v155                               // 000000004340: 7F360B9B
	v_mul_f32_e32 v152, v14, v152                              // 000000004344: 0B31310E
	v_mul_f32_e32 v153, v14, v153                              // 000000004348: 0B33330E
	v_mul_f32_e32 v154, v14, v154                              // 00000000434C: 0B35350E
	v_mul_f32_e32 v155, v14, v155                              // 000000004350: 0B37370E
	v_mul_f32_dpp v152, v16, v152 row_newbcast:12 row_mask:0xf bank_mask:0xf// 000000004354: 0B3130FA FF015C10
	v_mul_f32_dpp v153, v16, v153 row_newbcast:13 row_mask:0xf bank_mask:0xf// 00000000435C: 0B3332FA FF015D10
	v_mul_f32_dpp v154, v16, v154 row_newbcast:14 row_mask:0xf bank_mask:0xf// 000000004364: 0B3534FA FF015E10
	v_mul_f32_dpp v155, v16, v155 row_newbcast:15 row_mask:0xf bank_mask:0xf// 00000000436C: 0B3736FA FF015F10
	v_cvt_f32_i32_e32 v156, v156                               // 000000004374: 7F380B9C
	v_cvt_f32_i32_e32 v157, v157                               // 000000004378: 7F3A0B9D
	v_cvt_f32_i32_e32 v158, v158                               // 00000000437C: 7F3C0B9E
	v_cvt_f32_i32_e32 v159, v159                               // 000000004380: 7F3E0B9F
	v_mul_f32_e32 v156, v15, v156                              // 000000004384: 0B39390F
	v_mul_f32_e32 v157, v15, v157                              // 000000004388: 0B3B3B0F
	v_mul_f32_e32 v158, v15, v158                              // 00000000438C: 0B3D3D0F
	v_mul_f32_e32 v159, v15, v159                              // 000000004390: 0B3F3F0F
	v_mul_f32_dpp v156, v16, v156 row_newbcast:12 row_mask:0xf bank_mask:0xf// 000000004394: 0B3938FA FF015C10
	v_mul_f32_dpp v157, v16, v157 row_newbcast:13 row_mask:0xf bank_mask:0xf// 00000000439C: 0B3B3AFA FF015D10
	v_mul_f32_dpp v158, v16, v158 row_newbcast:14 row_mask:0xf bank_mask:0xf// 0000000043A4: 0B3D3CFA FF015E10
	v_mul_f32_dpp v159, v16, v159 row_newbcast:15 row_mask:0xf bank_mask:0xf// 0000000043AC: 0B3F3EFA FF015F10
	v_cvt_f32_i32_e32 v160, v160                               // 0000000043B4: 7F400BA0
	v_cvt_f32_i32_e32 v161, v161                               // 0000000043B8: 7F420BA1
	v_cvt_f32_i32_e32 v162, v162                               // 0000000043BC: 7F440BA2
	v_cvt_f32_i32_e32 v163, v163                               // 0000000043C0: 7F460BA3
	v_mul_f32_e32 v160, v14, v160                              // 0000000043C4: 0B41410E
	v_mul_f32_e32 v161, v14, v161                              // 0000000043C8: 0B43430E
	v_mul_f32_e32 v162, v14, v162                              // 0000000043CC: 0B45450E
	v_mul_f32_e32 v163, v14, v163                              // 0000000043D0: 0B47470E
	v_mul_f32_dpp v160, v17, v160 row_newbcast:0 row_mask:0xf bank_mask:0xf// 0000000043D4: 0B4140FA FF015011
	v_mul_f32_dpp v161, v17, v161 row_newbcast:1 row_mask:0xf bank_mask:0xf// 0000000043DC: 0B4342FA FF015111
	v_mul_f32_dpp v162, v17, v162 row_newbcast:2 row_mask:0xf bank_mask:0xf// 0000000043E4: 0B4544FA FF015211
	v_mul_f32_dpp v163, v17, v163 row_newbcast:3 row_mask:0xf bank_mask:0xf// 0000000043EC: 0B4746FA FF015311
	v_cvt_f32_i32_e32 v164, v164                               // 0000000043F4: 7F480BA4
	v_cvt_f32_i32_e32 v165, v165                               // 0000000043F8: 7F4A0BA5
	v_cvt_f32_i32_e32 v166, v166                               // 0000000043FC: 7F4C0BA6
	v_cvt_f32_i32_e32 v167, v167                               // 000000004400: 7F4E0BA7
	v_mul_f32_e32 v164, v15, v164                              // 000000004404: 0B49490F
	v_mul_f32_e32 v165, v15, v165                              // 000000004408: 0B4B4B0F
	v_mul_f32_e32 v166, v15, v166                              // 00000000440C: 0B4D4D0F
	v_mul_f32_e32 v167, v15, v167                              // 000000004410: 0B4F4F0F
	v_mul_f32_dpp v164, v17, v164 row_newbcast:0 row_mask:0xf bank_mask:0xf// 000000004414: 0B4948FA FF015011
	v_mul_f32_dpp v165, v17, v165 row_newbcast:1 row_mask:0xf bank_mask:0xf// 00000000441C: 0B4B4AFA FF015111
	v_mul_f32_dpp v166, v17, v166 row_newbcast:2 row_mask:0xf bank_mask:0xf// 000000004424: 0B4D4CFA FF015211
	v_mul_f32_dpp v167, v17, v167 row_newbcast:3 row_mask:0xf bank_mask:0xf// 00000000442C: 0B4F4EFA FF015311
	s_waitcnt vmcnt(16)                                        // 000000004434: BF8C4F70
	buffer_load_dwordx4 a[0:3], v39, s[12:15], 0 offen         // 000000004438: E05C1000 80830027
	v_mul_f32_e32 v48, v128, v128                              // 000000004440: 0A610180
	v_mul_f32_e32 v49, v129, v129                              // 000000004444: 0A630381
	v_mul_f32_e32 v50, v130, v130                              // 000000004448: 0A650582
	v_mul_f32_e32 v51, v131, v131                              // 00000000444C: 0A670783
	v_fma_f32 v48, v48, s77, v1                                // 000000004450: D1CB0030 04049B30
	v_fma_f32 v49, v49, s77, v1                                // 000000004458: D1CB0031 04049B31
	v_fma_f32 v50, v50, s77, v1                                // 000000004460: D1CB0032 04049B32
	v_fma_f32 v51, v51, s77, v1                                // 000000004468: D1CB0033 04049B33
	v_mul_f32_e32 v48, v48, v128                               // 000000004470: 0A610130
	v_mul_f32_e32 v49, v49, v129                               // 000000004474: 0A630331
	v_mul_f32_e32 v50, v50, v130                               // 000000004478: 0A650532
	v_mul_f32_e32 v51, v51, v131                               // 00000000447C: 0A670733
	v_mul_f32_e64 v48, v48, s6                                 // 000000004480: D1050030 00000D30
	v_mul_f32_e64 v49, v49, s6                                 // 000000004488: D1050031 00000D31
	v_mul_f32_e64 v50, v50, s6                                 // 000000004490: D1050032 00000D32
	v_mul_f32_e64 v51, v51, s6                                 // 000000004498: D1050033 00000D33
	v_exp_f32_e32 v48, v48                                     // 0000000044A0: 7E604130
	v_exp_f32_e32 v49, v49                                     // 0000000044A4: 7E624131
	v_exp_f32_e32 v50, v50                                     // 0000000044A8: 7E644132
	v_exp_f32_e32 v51, v51                                     // 0000000044AC: 7E664133
	buffer_load_dwordx4 a[4:7], v40, s[12:15], 0 offen         // 0000000044B0: E05C1000 80830428
	v_add_f32_e64 v48, v48, 1.0                                // 0000000044B8: D1010030 0001E530
	v_add_f32_e64 v49, v49, 1.0                                // 0000000044C0: D1010031 0001E531
	v_add_f32_e64 v50, v50, 1.0                                // 0000000044C8: D1010032 0001E532
	v_add_f32_e64 v51, v51, 1.0                                // 0000000044D0: D1010033 0001E533
	v_rcp_f32_e32 v48, v48                                     // 0000000044D8: 7E604530
	v_rcp_f32_e32 v49, v49                                     // 0000000044DC: 7E624531
	v_rcp_f32_e32 v50, v50                                     // 0000000044E0: 7E644532
	v_rcp_f32_e32 v51, v51                                     // 0000000044E4: 7E664533
	v_mul_f32_e32 v128, v128, v48                              // 0000000044E8: 0B006180
	v_mul_f32_e32 v129, v129, v49                              // 0000000044EC: 0B026381
	v_mul_f32_e32 v130, v130, v50                              // 0000000044F0: 0B046582
	v_mul_f32_e32 v131, v131, v51                              // 0000000044F4: 0B066783
	buffer_load_dwordx4 a[8:11], v41, s[12:15], 0 offen        // 0000000044F8: E05C1000 80830829
	v_mul_f32_e32 v48, v132, v132                              // 000000004500: 0A610984
	v_mul_f32_e32 v49, v133, v133                              // 000000004504: 0A630B85
	v_mul_f32_e32 v50, v134, v134                              // 000000004508: 0A650D86
	v_mul_f32_e32 v51, v135, v135                              // 00000000450C: 0A670F87
	v_fma_f32 v48, v48, s77, v1                                // 000000004510: D1CB0030 04049B30
	v_fma_f32 v49, v49, s77, v1                                // 000000004518: D1CB0031 04049B31
	v_fma_f32 v50, v50, s77, v1                                // 000000004520: D1CB0032 04049B32
	v_fma_f32 v51, v51, s77, v1                                // 000000004528: D1CB0033 04049B33
	v_mul_f32_e32 v48, v48, v132                               // 000000004530: 0A610930
	v_mul_f32_e32 v49, v49, v133                               // 000000004534: 0A630B31
	v_mul_f32_e32 v50, v50, v134                               // 000000004538: 0A650D32
	v_mul_f32_e32 v51, v51, v135                               // 00000000453C: 0A670F33
	v_mul_f32_e64 v48, v48, s6                                 // 000000004540: D1050030 00000D30
	v_mul_f32_e64 v49, v49, s6                                 // 000000004548: D1050031 00000D31
	v_mul_f32_e64 v50, v50, s6                                 // 000000004550: D1050032 00000D32
	v_mul_f32_e64 v51, v51, s6                                 // 000000004558: D1050033 00000D33
	v_exp_f32_e32 v48, v48                                     // 000000004560: 7E604130
	v_exp_f32_e32 v49, v49                                     // 000000004564: 7E624131
	v_exp_f32_e32 v50, v50                                     // 000000004568: 7E644132
	v_exp_f32_e32 v51, v51                                     // 00000000456C: 7E664133
	buffer_load_dwordx4 a[12:15], v42, s[12:15], 0 offen       // 000000004570: E05C1000 80830C2A
	s_add_u32 s12, s78, s12                                    // 000000004578: 800C0C4E
	s_addc_u32 s13, 0, s13                                     // 00000000457C: 820D0D80
	v_add_f32_e64 v48, v48, 1.0                                // 000000004580: D1010030 0001E530
	v_add_f32_e64 v49, v49, 1.0                                // 000000004588: D1010031 0001E531
	v_add_f32_e64 v50, v50, 1.0                                // 000000004590: D1010032 0001E532
	v_add_f32_e64 v51, v51, 1.0                                // 000000004598: D1010033 0001E533
	v_rcp_f32_e32 v48, v48                                     // 0000000045A0: 7E604530
	v_rcp_f32_e32 v49, v49                                     // 0000000045A4: 7E624531
	v_rcp_f32_e32 v50, v50                                     // 0000000045A8: 7E644532
	v_rcp_f32_e32 v51, v51                                     // 0000000045AC: 7E664533
	v_mul_f32_e32 v132, v132, v48                              // 0000000045B0: 0B086184
	v_mul_f32_e32 v133, v133, v49                              // 0000000045B4: 0B0A6385
	v_mul_f32_e32 v134, v134, v50                              // 0000000045B8: 0B0C6586
	v_mul_f32_e32 v135, v135, v51                              // 0000000045BC: 0B0E6787
	s_waitcnt vmcnt(16)                                        // 0000000045C0: BF8C4F70
	buffer_load_dwordx4 a[16:19], v39, s[12:15], 0 offen       // 0000000045C4: E05C1000 80831027
	v_mul_f32_e32 v48, v136, v136                              // 0000000045CC: 0A611188
	v_mul_f32_e32 v49, v137, v137                              // 0000000045D0: 0A631389
	v_mul_f32_e32 v50, v138, v138                              // 0000000045D4: 0A65158A
	v_mul_f32_e32 v51, v139, v139                              // 0000000045D8: 0A67178B
	v_fma_f32 v48, v48, s77, v1                                // 0000000045DC: D1CB0030 04049B30
	v_fma_f32 v49, v49, s77, v1                                // 0000000045E4: D1CB0031 04049B31
	v_fma_f32 v50, v50, s77, v1                                // 0000000045EC: D1CB0032 04049B32
	v_fma_f32 v51, v51, s77, v1                                // 0000000045F4: D1CB0033 04049B33
	v_mul_f32_e32 v48, v48, v136                               // 0000000045FC: 0A611130
	v_mul_f32_e32 v49, v49, v137                               // 000000004600: 0A631331
	v_mul_f32_e32 v50, v50, v138                               // 000000004604: 0A651532
	v_mul_f32_e32 v51, v51, v139                               // 000000004608: 0A671733
	v_mul_f32_e64 v48, v48, s6                                 // 00000000460C: D1050030 00000D30
	v_mul_f32_e64 v49, v49, s6                                 // 000000004614: D1050031 00000D31
	v_mul_f32_e64 v50, v50, s6                                 // 00000000461C: D1050032 00000D32
	v_mul_f32_e64 v51, v51, s6                                 // 000000004624: D1050033 00000D33
	v_exp_f32_e32 v48, v48                                     // 00000000462C: 7E604130
	v_exp_f32_e32 v49, v49                                     // 000000004630: 7E624131
	v_exp_f32_e32 v50, v50                                     // 000000004634: 7E644132
	v_exp_f32_e32 v51, v51                                     // 000000004638: 7E664133
	buffer_load_dwordx4 a[20:23], v40, s[12:15], 0 offen       // 00000000463C: E05C1000 80831428
	v_add_f32_e64 v48, v48, 1.0                                // 000000004644: D1010030 0001E530
	v_add_f32_e64 v49, v49, 1.0                                // 00000000464C: D1010031 0001E531
	v_add_f32_e64 v50, v50, 1.0                                // 000000004654: D1010032 0001E532
	v_add_f32_e64 v51, v51, 1.0                                // 00000000465C: D1010033 0001E533
	v_rcp_f32_e32 v48, v48                                     // 000000004664: 7E604530
	v_rcp_f32_e32 v49, v49                                     // 000000004668: 7E624531
	v_rcp_f32_e32 v50, v50                                     // 00000000466C: 7E644532
	v_rcp_f32_e32 v51, v51                                     // 000000004670: 7E664533
	v_mul_f32_e32 v136, v136, v48                              // 000000004674: 0B106188
	v_mul_f32_e32 v137, v137, v49                              // 000000004678: 0B126389
	v_mul_f32_e32 v138, v138, v50                              // 00000000467C: 0B14658A
	v_mul_f32_e32 v139, v139, v51                              // 000000004680: 0B16678B
	buffer_load_dwordx4 a[24:27], v41, s[12:15], 0 offen       // 000000004684: E05C1000 80831829
	v_mul_f32_e32 v48, v140, v140                              // 00000000468C: 0A61198C
	v_mul_f32_e32 v49, v141, v141                              // 000000004690: 0A631B8D
	v_mul_f32_e32 v50, v142, v142                              // 000000004694: 0A651D8E
	v_mul_f32_e32 v51, v143, v143                              // 000000004698: 0A671F8F
	v_fma_f32 v48, v48, s77, v1                                // 00000000469C: D1CB0030 04049B30
	v_fma_f32 v49, v49, s77, v1                                // 0000000046A4: D1CB0031 04049B31
	v_fma_f32 v50, v50, s77, v1                                // 0000000046AC: D1CB0032 04049B32
	v_fma_f32 v51, v51, s77, v1                                // 0000000046B4: D1CB0033 04049B33
	v_mul_f32_e32 v48, v48, v140                               // 0000000046BC: 0A611930
	v_mul_f32_e32 v49, v49, v141                               // 0000000046C0: 0A631B31
	v_mul_f32_e32 v50, v50, v142                               // 0000000046C4: 0A651D32
	v_mul_f32_e32 v51, v51, v143                               // 0000000046C8: 0A671F33
	v_mul_f32_e64 v48, v48, s6                                 // 0000000046CC: D1050030 00000D30
	v_mul_f32_e64 v49, v49, s6                                 // 0000000046D4: D1050031 00000D31
	v_mul_f32_e64 v50, v50, s6                                 // 0000000046DC: D1050032 00000D32
	v_mul_f32_e64 v51, v51, s6                                 // 0000000046E4: D1050033 00000D33
	v_exp_f32_e32 v48, v48                                     // 0000000046EC: 7E604130
	v_exp_f32_e32 v49, v49                                     // 0000000046F0: 7E624131
	v_exp_f32_e32 v50, v50                                     // 0000000046F4: 7E644132
	v_exp_f32_e32 v51, v51                                     // 0000000046F8: 7E664133
	buffer_load_dwordx4 a[28:31], v42, s[12:15], 0 offen       // 0000000046FC: E05C1000 80831C2A
	s_add_u32 s12, s78, s12                                    // 000000004704: 800C0C4E
	s_addc_u32 s13, 0, s13                                     // 000000004708: 820D0D80
	v_add_f32_e64 v48, v48, 1.0                                // 00000000470C: D1010030 0001E530
	v_add_f32_e64 v49, v49, 1.0                                // 000000004714: D1010031 0001E531
	v_add_f32_e64 v50, v50, 1.0                                // 00000000471C: D1010032 0001E532
	v_add_f32_e64 v51, v51, 1.0                                // 000000004724: D1010033 0001E533
	v_rcp_f32_e32 v48, v48                                     // 00000000472C: 7E604530
	v_rcp_f32_e32 v49, v49                                     // 000000004730: 7E624531
	v_rcp_f32_e32 v50, v50                                     // 000000004734: 7E644532
	v_rcp_f32_e32 v51, v51                                     // 000000004738: 7E664533
	v_mul_f32_e32 v140, v140, v48                              // 00000000473C: 0B18618C
	v_mul_f32_e32 v141, v141, v49                              // 000000004740: 0B1A638D
	v_mul_f32_e32 v142, v142, v50                              // 000000004744: 0B1C658E
	v_mul_f32_e32 v143, v143, v51                              // 000000004748: 0B1E678F
	s_waitcnt vmcnt(16)                                        // 00000000474C: BF8C4F70
	buffer_load_dwordx4 a[32:35], v39, s[12:15], 0 offen       // 000000004750: E05C1000 80832027
	v_mul_f32_e32 v48, v144, v144                              // 000000004758: 0A612190
	v_mul_f32_e32 v49, v145, v145                              // 00000000475C: 0A632391
	v_mul_f32_e32 v50, v146, v146                              // 000000004760: 0A652592
	v_mul_f32_e32 v51, v147, v147                              // 000000004764: 0A672793
	v_fma_f32 v48, v48, s77, v1                                // 000000004768: D1CB0030 04049B30
	v_fma_f32 v49, v49, s77, v1                                // 000000004770: D1CB0031 04049B31
	v_fma_f32 v50, v50, s77, v1                                // 000000004778: D1CB0032 04049B32
	v_fma_f32 v51, v51, s77, v1                                // 000000004780: D1CB0033 04049B33
	v_mul_f32_e32 v48, v48, v144                               // 000000004788: 0A612130
	v_mul_f32_e32 v49, v49, v145                               // 00000000478C: 0A632331
	v_mul_f32_e32 v50, v50, v146                               // 000000004790: 0A652532
	v_mul_f32_e32 v51, v51, v147                               // 000000004794: 0A672733
	v_mul_f32_e64 v48, v48, s6                                 // 000000004798: D1050030 00000D30
	v_mul_f32_e64 v49, v49, s6                                 // 0000000047A0: D1050031 00000D31
	v_mul_f32_e64 v50, v50, s6                                 // 0000000047A8: D1050032 00000D32
	v_mul_f32_e64 v51, v51, s6                                 // 0000000047B0: D1050033 00000D33
	v_exp_f32_e32 v48, v48                                     // 0000000047B8: 7E604130
	v_exp_f32_e32 v49, v49                                     // 0000000047BC: 7E624131
	v_exp_f32_e32 v50, v50                                     // 0000000047C0: 7E644132
	v_exp_f32_e32 v51, v51                                     // 0000000047C4: 7E664133
	buffer_load_dwordx4 a[36:39], v40, s[12:15], 0 offen       // 0000000047C8: E05C1000 80832428
	v_add_f32_e64 v48, v48, 1.0                                // 0000000047D0: D1010030 0001E530
	v_add_f32_e64 v49, v49, 1.0                                // 0000000047D8: D1010031 0001E531
	v_add_f32_e64 v50, v50, 1.0                                // 0000000047E0: D1010032 0001E532
	v_add_f32_e64 v51, v51, 1.0                                // 0000000047E8: D1010033 0001E533
	v_rcp_f32_e32 v48, v48                                     // 0000000047F0: 7E604530
	v_rcp_f32_e32 v49, v49                                     // 0000000047F4: 7E624531
	v_rcp_f32_e32 v50, v50                                     // 0000000047F8: 7E644532
	v_rcp_f32_e32 v51, v51                                     // 0000000047FC: 7E664533
	v_mul_f32_e32 v144, v144, v48                              // 000000004800: 0B206190
	v_mul_f32_e32 v145, v145, v49                              // 000000004804: 0B226391
	v_mul_f32_e32 v146, v146, v50                              // 000000004808: 0B246592
	v_mul_f32_e32 v147, v147, v51                              // 00000000480C: 0B266793
	buffer_load_dwordx4 a[40:43], v41, s[12:15], 0 offen       // 000000004810: E05C1000 80832829
	v_mul_f32_e32 v48, v148, v148                              // 000000004818: 0A612994
	v_mul_f32_e32 v49, v149, v149                              // 00000000481C: 0A632B95
	v_mul_f32_e32 v50, v150, v150                              // 000000004820: 0A652D96
	v_mul_f32_e32 v51, v151, v151                              // 000000004824: 0A672F97
	v_fma_f32 v48, v48, s77, v1                                // 000000004828: D1CB0030 04049B30
	v_fma_f32 v49, v49, s77, v1                                // 000000004830: D1CB0031 04049B31
	v_fma_f32 v50, v50, s77, v1                                // 000000004838: D1CB0032 04049B32
	v_fma_f32 v51, v51, s77, v1                                // 000000004840: D1CB0033 04049B33
	v_mul_f32_e32 v48, v48, v148                               // 000000004848: 0A612930
	v_mul_f32_e32 v49, v49, v149                               // 00000000484C: 0A632B31
	v_mul_f32_e32 v50, v50, v150                               // 000000004850: 0A652D32
	v_mul_f32_e32 v51, v51, v151                               // 000000004854: 0A672F33
	v_mul_f32_e64 v48, v48, s6                                 // 000000004858: D1050030 00000D30
	v_mul_f32_e64 v49, v49, s6                                 // 000000004860: D1050031 00000D31
	v_mul_f32_e64 v50, v50, s6                                 // 000000004868: D1050032 00000D32
	v_mul_f32_e64 v51, v51, s6                                 // 000000004870: D1050033 00000D33
	v_exp_f32_e32 v48, v48                                     // 000000004878: 7E604130
	v_exp_f32_e32 v49, v49                                     // 00000000487C: 7E624131
	v_exp_f32_e32 v50, v50                                     // 000000004880: 7E644132
	v_exp_f32_e32 v51, v51                                     // 000000004884: 7E664133
	buffer_load_dwordx4 a[44:47], v42, s[12:15], 0 offen       // 000000004888: E05C1000 80832C2A
	s_add_u32 s12, s78, s12                                    // 000000004890: 800C0C4E
	s_addc_u32 s13, 0, s13                                     // 000000004894: 820D0D80
	v_add_f32_e64 v48, v48, 1.0                                // 000000004898: D1010030 0001E530
	v_add_f32_e64 v49, v49, 1.0                                // 0000000048A0: D1010031 0001E531
	v_add_f32_e64 v50, v50, 1.0                                // 0000000048A8: D1010032 0001E532
	v_add_f32_e64 v51, v51, 1.0                                // 0000000048B0: D1010033 0001E533
	v_rcp_f32_e32 v48, v48                                     // 0000000048B8: 7E604530
	v_rcp_f32_e32 v49, v49                                     // 0000000048BC: 7E624531
	v_rcp_f32_e32 v50, v50                                     // 0000000048C0: 7E644532
	v_rcp_f32_e32 v51, v51                                     // 0000000048C4: 7E664533
	v_mul_f32_e32 v148, v148, v48                              // 0000000048C8: 0B286194
	v_mul_f32_e32 v149, v149, v49                              // 0000000048CC: 0B2A6395
	v_mul_f32_e32 v150, v150, v50                              // 0000000048D0: 0B2C6596
	v_mul_f32_e32 v151, v151, v51                              // 0000000048D4: 0B2E6797
	s_waitcnt vmcnt(16)                                        // 0000000048D8: BF8C4F70
	buffer_load_dwordx4 a[48:51], v39, s[12:15], 0 offen       // 0000000048DC: E05C1000 80833027
	v_mul_f32_e32 v48, v152, v152                              // 0000000048E4: 0A613198
	v_mul_f32_e32 v49, v153, v153                              // 0000000048E8: 0A633399
	v_mul_f32_e32 v50, v154, v154                              // 0000000048EC: 0A65359A
	v_mul_f32_e32 v51, v155, v155                              // 0000000048F0: 0A67379B
	v_fma_f32 v48, v48, s77, v1                                // 0000000048F4: D1CB0030 04049B30
	v_fma_f32 v49, v49, s77, v1                                // 0000000048FC: D1CB0031 04049B31
	v_fma_f32 v50, v50, s77, v1                                // 000000004904: D1CB0032 04049B32
	v_fma_f32 v51, v51, s77, v1                                // 00000000490C: D1CB0033 04049B33
	v_mul_f32_e32 v48, v48, v152                               // 000000004914: 0A613130
	v_mul_f32_e32 v49, v49, v153                               // 000000004918: 0A633331
	v_mul_f32_e32 v50, v50, v154                               // 00000000491C: 0A653532
	v_mul_f32_e32 v51, v51, v155                               // 000000004920: 0A673733
	v_mul_f32_e64 v48, v48, s6                                 // 000000004924: D1050030 00000D30
	v_mul_f32_e64 v49, v49, s6                                 // 00000000492C: D1050031 00000D31
	v_mul_f32_e64 v50, v50, s6                                 // 000000004934: D1050032 00000D32
	v_mul_f32_e64 v51, v51, s6                                 // 00000000493C: D1050033 00000D33
	v_exp_f32_e32 v48, v48                                     // 000000004944: 7E604130
	v_exp_f32_e32 v49, v49                                     // 000000004948: 7E624131
	v_exp_f32_e32 v50, v50                                     // 00000000494C: 7E644132
	v_exp_f32_e32 v51, v51                                     // 000000004950: 7E664133
	buffer_load_dwordx4 a[52:55], v40, s[12:15], 0 offen       // 000000004954: E05C1000 80833428
	v_add_f32_e64 v48, v48, 1.0                                // 00000000495C: D1010030 0001E530
	v_add_f32_e64 v49, v49, 1.0                                // 000000004964: D1010031 0001E531
	v_add_f32_e64 v50, v50, 1.0                                // 00000000496C: D1010032 0001E532
	v_add_f32_e64 v51, v51, 1.0                                // 000000004974: D1010033 0001E533
	v_rcp_f32_e32 v48, v48                                     // 00000000497C: 7E604530
	v_rcp_f32_e32 v49, v49                                     // 000000004980: 7E624531
	v_rcp_f32_e32 v50, v50                                     // 000000004984: 7E644532
	v_rcp_f32_e32 v51, v51                                     // 000000004988: 7E664533
	v_mul_f32_e32 v152, v152, v48                              // 00000000498C: 0B306198
	v_mul_f32_e32 v153, v153, v49                              // 000000004990: 0B326399
	v_mul_f32_e32 v154, v154, v50                              // 000000004994: 0B34659A
	v_mul_f32_e32 v155, v155, v51                              // 000000004998: 0B36679B
	buffer_load_dwordx4 a[56:59], v41, s[12:15], 0 offen       // 00000000499C: E05C1000 80833829
	v_mul_f32_e32 v48, v156, v156                              // 0000000049A4: 0A61399C
	v_mul_f32_e32 v49, v157, v157                              // 0000000049A8: 0A633B9D
	v_mul_f32_e32 v50, v158, v158                              // 0000000049AC: 0A653D9E
	v_mul_f32_e32 v51, v159, v159                              // 0000000049B0: 0A673F9F
	v_fma_f32 v48, v48, s77, v1                                // 0000000049B4: D1CB0030 04049B30
	v_fma_f32 v49, v49, s77, v1                                // 0000000049BC: D1CB0031 04049B31
	v_fma_f32 v50, v50, s77, v1                                // 0000000049C4: D1CB0032 04049B32
	v_fma_f32 v51, v51, s77, v1                                // 0000000049CC: D1CB0033 04049B33
	v_mul_f32_e32 v48, v48, v156                               // 0000000049D4: 0A613930
	v_mul_f32_e32 v49, v49, v157                               // 0000000049D8: 0A633B31
	v_mul_f32_e32 v50, v50, v158                               // 0000000049DC: 0A653D32
	v_mul_f32_e32 v51, v51, v159                               // 0000000049E0: 0A673F33
	v_mul_f32_e64 v48, v48, s6                                 // 0000000049E4: D1050030 00000D30
	v_mul_f32_e64 v49, v49, s6                                 // 0000000049EC: D1050031 00000D31
	v_mul_f32_e64 v50, v50, s6                                 // 0000000049F4: D1050032 00000D32
	v_mul_f32_e64 v51, v51, s6                                 // 0000000049FC: D1050033 00000D33
	v_exp_f32_e32 v48, v48                                     // 000000004A04: 7E604130
	v_exp_f32_e32 v49, v49                                     // 000000004A08: 7E624131
	v_exp_f32_e32 v50, v50                                     // 000000004A0C: 7E644132
	v_exp_f32_e32 v51, v51                                     // 000000004A10: 7E664133
	buffer_load_dwordx4 a[60:63], v42, s[12:15], 0 offen       // 000000004A14: E05C1000 80833C2A
	s_add_u32 s12, s78, s12                                    // 000000004A1C: 800C0C4E
	s_addc_u32 s13, 0, s13                                     // 000000004A20: 820D0D80
	v_add_f32_e64 v48, v48, 1.0                                // 000000004A24: D1010030 0001E530
	v_add_f32_e64 v49, v49, 1.0                                // 000000004A2C: D1010031 0001E531
	v_add_f32_e64 v50, v50, 1.0                                // 000000004A34: D1010032 0001E532
	v_add_f32_e64 v51, v51, 1.0                                // 000000004A3C: D1010033 0001E533
	v_rcp_f32_e32 v48, v48                                     // 000000004A44: 7E604530
	v_rcp_f32_e32 v49, v49                                     // 000000004A48: 7E624531
	v_rcp_f32_e32 v50, v50                                     // 000000004A4C: 7E644532
	v_rcp_f32_e32 v51, v51                                     // 000000004A50: 7E664533
	v_mul_f32_e32 v156, v156, v48                              // 000000004A54: 0B38619C
	v_mul_f32_e32 v157, v157, v49                              // 000000004A58: 0B3A639D
	v_mul_f32_e32 v158, v158, v50                              // 000000004A5C: 0B3C659E
	v_mul_f32_e32 v159, v159, v51                              // 000000004A60: 0B3E679F
	s_waitcnt vmcnt(16)                                        // 000000004A64: BF8C4F70
	buffer_load_dwordx4 a[64:67], v39, s[12:15], 0 offen       // 000000004A68: E05C1000 80834027
	v_mul_f32_e32 v48, v160, v160                              // 000000004A70: 0A6141A0
	v_mul_f32_e32 v49, v161, v161                              // 000000004A74: 0A6343A1
	v_mul_f32_e32 v50, v162, v162                              // 000000004A78: 0A6545A2
	v_mul_f32_e32 v51, v163, v163                              // 000000004A7C: 0A6747A3
	v_fma_f32 v48, v48, s77, v1                                // 000000004A80: D1CB0030 04049B30
	v_fma_f32 v49, v49, s77, v1                                // 000000004A88: D1CB0031 04049B31
	v_fma_f32 v50, v50, s77, v1                                // 000000004A90: D1CB0032 04049B32
	v_fma_f32 v51, v51, s77, v1                                // 000000004A98: D1CB0033 04049B33
	v_mul_f32_e32 v48, v48, v160                               // 000000004AA0: 0A614130
	v_mul_f32_e32 v49, v49, v161                               // 000000004AA4: 0A634331
	v_mul_f32_e32 v50, v50, v162                               // 000000004AA8: 0A654532
	v_mul_f32_e32 v51, v51, v163                               // 000000004AAC: 0A674733
	v_mul_f32_e64 v48, v48, s6                                 // 000000004AB0: D1050030 00000D30
	v_mul_f32_e64 v49, v49, s6                                 // 000000004AB8: D1050031 00000D31
	v_mul_f32_e64 v50, v50, s6                                 // 000000004AC0: D1050032 00000D32
	v_mul_f32_e64 v51, v51, s6                                 // 000000004AC8: D1050033 00000D33
	v_exp_f32_e32 v48, v48                                     // 000000004AD0: 7E604130
	v_exp_f32_e32 v49, v49                                     // 000000004AD4: 7E624131
	v_exp_f32_e32 v50, v50                                     // 000000004AD8: 7E644132
	v_exp_f32_e32 v51, v51                                     // 000000004ADC: 7E664133
	buffer_load_dwordx4 a[68:71], v40, s[12:15], 0 offen       // 000000004AE0: E05C1000 80834428
	v_add_f32_e64 v48, v48, 1.0                                // 000000004AE8: D1010030 0001E530
	v_add_f32_e64 v49, v49, 1.0                                // 000000004AF0: D1010031 0001E531
	v_add_f32_e64 v50, v50, 1.0                                // 000000004AF8: D1010032 0001E532
	v_add_f32_e64 v51, v51, 1.0                                // 000000004B00: D1010033 0001E533
	v_rcp_f32_e32 v48, v48                                     // 000000004B08: 7E604530
	v_rcp_f32_e32 v49, v49                                     // 000000004B0C: 7E624531
	v_rcp_f32_e32 v50, v50                                     // 000000004B10: 7E644532
	v_rcp_f32_e32 v51, v51                                     // 000000004B14: 7E664533
	v_mul_f32_e32 v160, v160, v48                              // 000000004B18: 0B4061A0
	v_mul_f32_e32 v161, v161, v49                              // 000000004B1C: 0B4263A1
	v_mul_f32_e32 v162, v162, v50                              // 000000004B20: 0B4465A2
	v_mul_f32_e32 v163, v163, v51                              // 000000004B24: 0B4667A3
	buffer_load_dwordx4 a[72:75], v41, s[12:15], 0 offen       // 000000004B28: E05C1000 80834829
	v_mul_f32_e32 v48, v164, v164                              // 000000004B30: 0A6149A4
	v_mul_f32_e32 v49, v165, v165                              // 000000004B34: 0A634BA5
	v_mul_f32_e32 v50, v166, v166                              // 000000004B38: 0A654DA6
	v_mul_f32_e32 v51, v167, v167                              // 000000004B3C: 0A674FA7
	v_fma_f32 v48, v48, s77, v1                                // 000000004B40: D1CB0030 04049B30
	v_fma_f32 v49, v49, s77, v1                                // 000000004B48: D1CB0031 04049B31
	v_fma_f32 v50, v50, s77, v1                                // 000000004B50: D1CB0032 04049B32
	v_fma_f32 v51, v51, s77, v1                                // 000000004B58: D1CB0033 04049B33
	v_mul_f32_e32 v48, v48, v164                               // 000000004B60: 0A614930
	v_mul_f32_e32 v49, v49, v165                               // 000000004B64: 0A634B31
	v_mul_f32_e32 v50, v50, v166                               // 000000004B68: 0A654D32
	v_mul_f32_e32 v51, v51, v167                               // 000000004B6C: 0A674F33
	v_mul_f32_e64 v48, v48, s6                                 // 000000004B70: D1050030 00000D30
	v_mul_f32_e64 v49, v49, s6                                 // 000000004B78: D1050031 00000D31
	v_mul_f32_e64 v50, v50, s6                                 // 000000004B80: D1050032 00000D32
	v_mul_f32_e64 v51, v51, s6                                 // 000000004B88: D1050033 00000D33
	v_exp_f32_e32 v48, v48                                     // 000000004B90: 7E604130
	v_exp_f32_e32 v49, v49                                     // 000000004B94: 7E624131
	v_exp_f32_e32 v50, v50                                     // 000000004B98: 7E644132
	v_exp_f32_e32 v51, v51                                     // 000000004B9C: 7E664133
	buffer_load_dwordx4 a[76:79], v42, s[12:15], 0 offen       // 000000004BA0: E05C1000 80834C2A
	v_add_f32_e64 v48, v48, 1.0                                // 000000004BA8: D1010030 0001E530
	v_add_f32_e64 v49, v49, 1.0                                // 000000004BB0: D1010031 0001E531
	v_add_f32_e64 v50, v50, 1.0                                // 000000004BB8: D1010032 0001E532
	v_add_f32_e64 v51, v51, 1.0                                // 000000004BC0: D1010033 0001E533
	v_rcp_f32_e32 v48, v48                                     // 000000004BC8: 7E604530
	v_rcp_f32_e32 v49, v49                                     // 000000004BCC: 7E624531
	v_rcp_f32_e32 v50, v50                                     // 000000004BD0: 7E644532
	v_rcp_f32_e32 v51, v51                                     // 000000004BD4: 7E664533
	v_mul_f32_e32 v164, v164, v48                              // 000000004BD8: 0B4861A4
	v_mul_f32_e32 v165, v165, v49                              // 000000004BDC: 0B4A63A5
	v_mul_f32_e32 v166, v166, v50                              // 000000004BE0: 0B4C65A6
	v_mul_f32_e32 v167, v167, v51                              // 000000004BE4: 0B4E67A7
	v_mul_f32_dpp v128, v18, v128 row_newbcast:0 row_mask:0xf bank_mask:0xf// 000000004BE8: 0B0100FA FF015012
	v_mul_f32_dpp v129, v18, v129 row_newbcast:1 row_mask:0xf bank_mask:0xf// 000000004BF0: 0B0302FA FF015112
	v_mul_f32_dpp v130, v18, v130 row_newbcast:2 row_mask:0xf bank_mask:0xf// 000000004BF8: 0B0504FA FF015212
	v_mul_f32_dpp v131, v18, v131 row_newbcast:3 row_mask:0xf bank_mask:0xf// 000000004C00: 0B0706FA FF015312
	v_mul_f32_dpp v132, v18, v132 row_newbcast:0 row_mask:0xf bank_mask:0xf// 000000004C08: 0B0908FA FF015012
	v_mul_f32_dpp v133, v18, v133 row_newbcast:1 row_mask:0xf bank_mask:0xf// 000000004C10: 0B0B0AFA FF015112
	v_mul_f32_dpp v134, v18, v134 row_newbcast:2 row_mask:0xf bank_mask:0xf// 000000004C18: 0B0D0CFA FF015212
	v_mul_f32_dpp v135, v18, v135 row_newbcast:3 row_mask:0xf bank_mask:0xf// 000000004C20: 0B0F0EFA FF015312
	v_mul_f32_dpp v136, v18, v136 row_newbcast:4 row_mask:0xf bank_mask:0xf// 000000004C28: 0B1110FA FF015412
	v_mul_f32_dpp v137, v18, v137 row_newbcast:5 row_mask:0xf bank_mask:0xf// 000000004C30: 0B1312FA FF015512
	v_mul_f32_dpp v138, v18, v138 row_newbcast:6 row_mask:0xf bank_mask:0xf// 000000004C38: 0B1514FA FF015612
	v_mul_f32_dpp v139, v18, v139 row_newbcast:7 row_mask:0xf bank_mask:0xf// 000000004C40: 0B1716FA FF015712
	v_mul_f32_dpp v140, v18, v140 row_newbcast:4 row_mask:0xf bank_mask:0xf// 000000004C48: 0B1918FA FF015412
	v_mul_f32_dpp v141, v18, v141 row_newbcast:5 row_mask:0xf bank_mask:0xf// 000000004C50: 0B1B1AFA FF015512
	v_mul_f32_dpp v142, v18, v142 row_newbcast:6 row_mask:0xf bank_mask:0xf// 000000004C58: 0B1D1CFA FF015612
	v_mul_f32_dpp v143, v18, v143 row_newbcast:7 row_mask:0xf bank_mask:0xf// 000000004C60: 0B1F1EFA FF015712
	v_mul_f32_dpp v144, v18, v144 row_newbcast:8 row_mask:0xf bank_mask:0xf// 000000004C68: 0B2120FA FF015812
	v_mul_f32_dpp v145, v18, v145 row_newbcast:9 row_mask:0xf bank_mask:0xf// 000000004C70: 0B2322FA FF015912
	v_mul_f32_dpp v146, v18, v146 row_newbcast:10 row_mask:0xf bank_mask:0xf// 000000004C78: 0B2524FA FF015A12
	v_mul_f32_dpp v147, v18, v147 row_newbcast:11 row_mask:0xf bank_mask:0xf// 000000004C80: 0B2726FA FF015B12
	v_mul_f32_dpp v148, v18, v148 row_newbcast:8 row_mask:0xf bank_mask:0xf// 000000004C88: 0B2928FA FF015812
	v_mul_f32_dpp v149, v18, v149 row_newbcast:9 row_mask:0xf bank_mask:0xf// 000000004C90: 0B2B2AFA FF015912
	v_mul_f32_dpp v150, v18, v150 row_newbcast:10 row_mask:0xf bank_mask:0xf// 000000004C98: 0B2D2CFA FF015A12
	v_mul_f32_dpp v151, v18, v151 row_newbcast:11 row_mask:0xf bank_mask:0xf// 000000004CA0: 0B2F2EFA FF015B12
	v_mul_f32_dpp v152, v18, v152 row_newbcast:12 row_mask:0xf bank_mask:0xf// 000000004CA8: 0B3130FA FF015C12
	v_mul_f32_dpp v153, v18, v153 row_newbcast:13 row_mask:0xf bank_mask:0xf// 000000004CB0: 0B3332FA FF015D12
	v_mul_f32_dpp v154, v18, v154 row_newbcast:14 row_mask:0xf bank_mask:0xf// 000000004CB8: 0B3534FA FF015E12
	v_mul_f32_dpp v155, v18, v155 row_newbcast:15 row_mask:0xf bank_mask:0xf// 000000004CC0: 0B3736FA FF015F12
	v_mul_f32_dpp v156, v18, v156 row_newbcast:12 row_mask:0xf bank_mask:0xf// 000000004CC8: 0B3938FA FF015C12
	v_mul_f32_dpp v157, v18, v157 row_newbcast:13 row_mask:0xf bank_mask:0xf// 000000004CD0: 0B3B3AFA FF015D12
	v_mul_f32_dpp v158, v18, v158 row_newbcast:14 row_mask:0xf bank_mask:0xf// 000000004CD8: 0B3D3CFA FF015E12
	v_mul_f32_dpp v159, v18, v159 row_newbcast:15 row_mask:0xf bank_mask:0xf// 000000004CE0: 0B3F3EFA FF015F12
	v_mul_f32_dpp v160, v19, v160 row_newbcast:0 row_mask:0xf bank_mask:0xf// 000000004CE8: 0B4140FA FF015013
	v_mul_f32_dpp v161, v19, v161 row_newbcast:1 row_mask:0xf bank_mask:0xf// 000000004CF0: 0B4342FA FF015113
	v_mul_f32_dpp v162, v19, v162 row_newbcast:2 row_mask:0xf bank_mask:0xf// 000000004CF8: 0B4544FA FF015213
	v_mul_f32_dpp v163, v19, v163 row_newbcast:3 row_mask:0xf bank_mask:0xf// 000000004D00: 0B4746FA FF015313
	v_mul_f32_dpp v164, v19, v164 row_newbcast:0 row_mask:0xf bank_mask:0xf// 000000004D08: 0B4948FA FF015013
	v_mul_f32_dpp v165, v19, v165 row_newbcast:1 row_mask:0xf bank_mask:0xf// 000000004D10: 0B4B4AFA FF015113
	v_mul_f32_dpp v166, v19, v166 row_newbcast:2 row_mask:0xf bank_mask:0xf// 000000004D18: 0B4D4CFA FF015213
	v_mul_f32_dpp v167, v19, v167 row_newbcast:3 row_mask:0xf bank_mask:0xf// 000000004D20: 0B4F4EFA FF015313
	buffer_load_dword v12, v5, s[16:19], 0 offen               // 000000004D28: E0501000 80040C05
	v_mov_b32_e32 v22, 0x358637bd                              // 000000004D30: 7E2C02FF 358637BD
	v_mov_b32_e32 v23, 0x358637bd                              // 000000004D38: 7E2E02FF 358637BD
	v_max3_f32 v22, |v128|, |v129|, v22                        // 000000004D40: D1D30316 045B0380
	v_max3_f32 v22, |v130|, |v131|, v22                        // 000000004D48: D1D30316 045B0782
	v_max3_f32 v23, |v132|, |v133|, v23                        // 000000004D50: D1D30317 045F0B84
	v_max3_f32 v23, |v134|, |v135|, v23                        // 000000004D58: D1D30317 045F0F86
	v_max3_f32 v22, |v136|, |v137|, v22                        // 000000004D60: D1D30316 045B1388
	v_max3_f32 v22, |v138|, |v139|, v22                        // 000000004D68: D1D30316 045B178A
	v_max3_f32 v23, |v140|, |v141|, v23                        // 000000004D70: D1D30317 045F1B8C
	v_max3_f32 v23, |v142|, |v143|, v23                        // 000000004D78: D1D30317 045F1F8E
	v_max3_f32 v22, |v144|, |v145|, v22                        // 000000004D80: D1D30316 045B2390
	v_max3_f32 v22, |v146|, |v147|, v22                        // 000000004D88: D1D30316 045B2792
	v_max3_f32 v23, |v148|, |v149|, v23                        // 000000004D90: D1D30317 045F2B94
	v_max3_f32 v23, |v150|, |v151|, v23                        // 000000004D98: D1D30317 045F2F96
	v_max3_f32 v22, |v152|, |v153|, v22                        // 000000004DA0: D1D30316 045B3398
	v_max3_f32 v22, |v154|, |v155|, v22                        // 000000004DA8: D1D30316 045B379A
	v_max3_f32 v23, |v156|, |v157|, v23                        // 000000004DB0: D1D30317 045F3B9C
	v_max3_f32 v23, |v158|, |v159|, v23                        // 000000004DB8: D1D30317 045F3F9E
	v_max3_f32 v22, |v160|, |v161|, v22                        // 000000004DC0: D1D30316 045B43A0
	v_max3_f32 v22, |v162|, |v163|, v22                        // 000000004DC8: D1D30316 045B47A2
	v_max3_f32 v23, |v164|, |v165|, v23                        // 000000004DD0: D1D30317 045F4BA4
	v_max3_f32 v23, |v166|, |v167|, v23                        // 000000004DD8: D1D30317 045F4FA6
	v_lshlrev_b32_e32 v48, 3, v0                               // 000000004DE0: 24600083
	s_mul_i32 s60, 0x200, s7                                   // 000000004DE4: 923C07FF 00000200
	v_add_u32_e32 v48, s60, v48                                // 000000004DEC: 6860603C
	ds_write_b64 v48, v[22:23] offset:16640                    // 000000004DF0: D89A4100 00001630
	s_waitcnt lgkmcnt(0)                                       // 000000004DF8: BF8CC07F
	s_barrier                                                  // 000000004DFC: BF8A0000
	v_and_b32_e32 v48, 15, v0                                  // 000000004E00: 2660008F
	v_lshlrev_b32_e32 v48, 3, v48                              // 000000004E04: 24606083
	ds_read_b64 v[96:97], v48 offset:16640                     // 000000004E08: D8EC4100 60000030
	ds_read_b64 v[98:99], v48 offset:16768                     // 000000004E10: D8EC4180 62000030
	ds_read_b64 v[100:101], v48 offset:16896                   // 000000004E18: D8EC4200 64000030
	ds_read_b64 v[102:103], v48 offset:17024                   // 000000004E20: D8EC4280 66000030
	ds_read_b64 v[104:105], v48 offset:17152                   // 000000004E28: D8EC4300 68000030
	ds_read_b64 v[106:107], v48 offset:17280                   // 000000004E30: D8EC4380 6A000030
	ds_read_b64 v[108:109], v48 offset:17408                   // 000000004E38: D8EC4400 6C000030
	ds_read_b64 v[110:111], v48 offset:17536                   // 000000004E40: D8EC4480 6E000030
	ds_read_b64 v[112:113], v48 offset:17664                   // 000000004E48: D8EC4500 70000030
	ds_read_b64 v[114:115], v48 offset:17792                   // 000000004E50: D8EC4580 72000030
	ds_read_b64 v[116:117], v48 offset:17920                   // 000000004E58: D8EC4600 74000030
	ds_read_b64 v[118:119], v48 offset:18048                   // 000000004E60: D8EC4680 76000030
	ds_read_b64 v[120:121], v48 offset:18176                   // 000000004E68: D8EC4700 78000030
	ds_read_b64 v[122:123], v48 offset:18304                   // 000000004E70: D8EC4780 7A000030
	ds_read_b64 v[124:125], v48 offset:18432                   // 000000004E78: D8EC4800 7C000030
	ds_read_b64 v[126:127], v48 offset:18560                   // 000000004E80: D8EC4880 7E000030
	s_waitcnt lgkmcnt(0)                                       // 000000004E88: BF8CC07F
	v_max3_f32 v22, |v96|, |v98|, v22                          // 000000004E8C: D1D30316 045AC560
	v_max3_f32 v23, |v97|, |v99|, v23                          // 000000004E94: D1D30317 045EC761
	v_max3_f32 v22, |v100|, |v102|, v22                        // 000000004E9C: D1D30316 045ACD64
	v_max3_f32 v23, |v101|, |v103|, v23                        // 000000004EA4: D1D30317 045ECF65
	v_max3_f32 v22, |v104|, |v106|, v22                        // 000000004EAC: D1D30316 045AD568
	v_max3_f32 v23, |v105|, |v107|, v23                        // 000000004EB4: D1D30317 045ED769
	v_max3_f32 v22, |v108|, |v110|, v22                        // 000000004EBC: D1D30316 045ADD6C
	v_max3_f32 v23, |v109|, |v111|, v23                        // 000000004EC4: D1D30317 045EDF6D
	v_max3_f32 v22, |v112|, |v114|, v22                        // 000000004ECC: D1D30316 045AE570
	v_max3_f32 v23, |v113|, |v115|, v23                        // 000000004ED4: D1D30317 045EE771
	v_max3_f32 v22, |v116|, |v118|, v22                        // 000000004EDC: D1D30316 045AED74
	v_max3_f32 v23, |v117|, |v119|, v23                        // 000000004EE4: D1D30317 045EEF75
	v_max3_f32 v22, |v120|, |v122|, v22                        // 000000004EEC: D1D30316 045AF578
	v_max3_f32 v23, |v121|, |v123|, v23                        // 000000004EF4: D1D30317 045EF779
	v_max3_f32 v22, |v124|, |v126|, v22                        // 000000004EFC: D1D30316 045AFD7C
	v_max3_f32 v23, |v125|, |v127|, v23                        // 000000004F04: D1D30317 045EFF7D
	v_rcp_f32_e32 v22, v22                                     // 000000004F0C: 7E2C4516
	v_rcp_f32_e32 v23, v23                                     // 000000004F10: 7E2E4517
	v_mul_f32_e32 v22, 0x42fe0000, v22                         // 000000004F14: 0A2C2CFF 42FE0000
	v_mul_f32_e32 v23, 0x42fe0000, v23                         // 000000004F1C: 0A2E2EFF 42FE0000
	v_mul_f32_e32 v128, v22, v128                              // 000000004F24: 0B010116
	v_mul_f32_e32 v129, v22, v129                              // 000000004F28: 0B030316
	v_mul_f32_e32 v130, v22, v130                              // 000000004F2C: 0B050516
	v_mul_f32_e32 v131, v22, v131                              // 000000004F30: 0B070716
	v_cvt_i32_f32_e32 v128, v128                               // 000000004F34: 7F001180
	v_cvt_i32_f32_e32 v129, v129                               // 000000004F38: 7F021181
	v_cvt_i32_f32_e32 v130, v130                               // 000000004F3C: 7F041182
	v_cvt_i32_f32_e32 v131, v131                               // 000000004F40: 7F061183
	v_perm_b32 v128, v129, v128, s53                           // 000000004F44: D1ED0080 00D70181
	v_perm_b32 v128, v130, v128, s54                           // 000000004F4C: D1ED0080 00DB0182
	v_perm_b32 v128, v131, v128, s55                           // 000000004F54: D1ED0080 00DF0183
	v_mul_f32_e32 v132, v23, v132                              // 000000004F5C: 0B090917
	v_mul_f32_e32 v133, v23, v133                              // 000000004F60: 0B0B0B17
	v_mul_f32_e32 v134, v23, v134                              // 000000004F64: 0B0D0D17
	v_mul_f32_e32 v135, v23, v135                              // 000000004F68: 0B0F0F17
	v_cvt_i32_f32_e32 v132, v132                               // 000000004F6C: 7F081184
	v_cvt_i32_f32_e32 v133, v133                               // 000000004F70: 7F0A1185
	v_cvt_i32_f32_e32 v134, v134                               // 000000004F74: 7F0C1186
	v_cvt_i32_f32_e32 v135, v135                               // 000000004F78: 7F0E1187
	v_perm_b32 v129, v133, v132, s53                           // 000000004F7C: D1ED0081 00D70985
	v_perm_b32 v129, v134, v129, s54                           // 000000004F84: D1ED0081 00DB0386
	v_perm_b32 v129, v135, v129, s55                           // 000000004F8C: D1ED0081 00DF0387
	v_mul_f32_e32 v136, v22, v136                              // 000000004F94: 0B111116
	v_mul_f32_e32 v137, v22, v137                              // 000000004F98: 0B131316
	v_mul_f32_e32 v138, v22, v138                              // 000000004F9C: 0B151516
	v_mul_f32_e32 v139, v22, v139                              // 000000004FA0: 0B171716
	v_cvt_i32_f32_e32 v136, v136                               // 000000004FA4: 7F101188
	v_cvt_i32_f32_e32 v137, v137                               // 000000004FA8: 7F121189
	v_cvt_i32_f32_e32 v138, v138                               // 000000004FAC: 7F14118A
	v_cvt_i32_f32_e32 v139, v139                               // 000000004FB0: 7F16118B
	v_perm_b32 v130, v137, v136, s53                           // 000000004FB4: D1ED0082 00D71189
	v_perm_b32 v130, v138, v130, s54                           // 000000004FBC: D1ED0082 00DB058A
	v_perm_b32 v130, v139, v130, s55                           // 000000004FC4: D1ED0082 00DF058B
	v_mul_f32_e32 v140, v23, v140                              // 000000004FCC: 0B191917
	v_mul_f32_e32 v141, v23, v141                              // 000000004FD0: 0B1B1B17
	v_mul_f32_e32 v142, v23, v142                              // 000000004FD4: 0B1D1D17
	v_mul_f32_e32 v143, v23, v143                              // 000000004FD8: 0B1F1F17
	v_cvt_i32_f32_e32 v140, v140                               // 000000004FDC: 7F18118C
	v_cvt_i32_f32_e32 v141, v141                               // 000000004FE0: 7F1A118D
	v_cvt_i32_f32_e32 v142, v142                               // 000000004FE4: 7F1C118E
	v_cvt_i32_f32_e32 v143, v143                               // 000000004FE8: 7F1E118F
	v_perm_b32 v131, v141, v140, s53                           // 000000004FEC: D1ED0083 00D7198D
	v_perm_b32 v131, v142, v131, s54                           // 000000004FF4: D1ED0083 00DB078E
	v_perm_b32 v131, v143, v131, s55                           // 000000004FFC: D1ED0083 00DF078F
	v_mul_f32_e32 v144, v22, v144                              // 000000005004: 0B212116
	v_mul_f32_e32 v145, v22, v145                              // 000000005008: 0B232316
	v_mul_f32_e32 v146, v22, v146                              // 00000000500C: 0B252516
	v_mul_f32_e32 v147, v22, v147                              // 000000005010: 0B272716
	v_cvt_i32_f32_e32 v144, v144                               // 000000005014: 7F201190
	v_cvt_i32_f32_e32 v145, v145                               // 000000005018: 7F221191
	v_cvt_i32_f32_e32 v146, v146                               // 00000000501C: 7F241192
	v_cvt_i32_f32_e32 v147, v147                               // 000000005020: 7F261193
	v_perm_b32 v132, v145, v144, s53                           // 000000005024: D1ED0084 00D72191
	v_perm_b32 v132, v146, v132, s54                           // 00000000502C: D1ED0084 00DB0992
	v_perm_b32 v132, v147, v132, s55                           // 000000005034: D1ED0084 00DF0993
	v_mul_f32_e32 v148, v23, v148                              // 00000000503C: 0B292917
	v_mul_f32_e32 v149, v23, v149                              // 000000005040: 0B2B2B17
	v_mul_f32_e32 v150, v23, v150                              // 000000005044: 0B2D2D17
	v_mul_f32_e32 v151, v23, v151                              // 000000005048: 0B2F2F17
	v_cvt_i32_f32_e32 v148, v148                               // 00000000504C: 7F281194
	v_cvt_i32_f32_e32 v149, v149                               // 000000005050: 7F2A1195
	v_cvt_i32_f32_e32 v150, v150                               // 000000005054: 7F2C1196
	v_cvt_i32_f32_e32 v151, v151                               // 000000005058: 7F2E1197
	v_perm_b32 v133, v149, v148, s53                           // 00000000505C: D1ED0085 00D72995
	v_perm_b32 v133, v150, v133, s54                           // 000000005064: D1ED0085 00DB0B96
	v_perm_b32 v133, v151, v133, s55                           // 00000000506C: D1ED0085 00DF0B97
	v_mul_f32_e32 v152, v22, v152                              // 000000005074: 0B313116
	v_mul_f32_e32 v153, v22, v153                              // 000000005078: 0B333316
	v_mul_f32_e32 v154, v22, v154                              // 00000000507C: 0B353516
	v_mul_f32_e32 v155, v22, v155                              // 000000005080: 0B373716
	v_cvt_i32_f32_e32 v152, v152                               // 000000005084: 7F301198
	v_cvt_i32_f32_e32 v153, v153                               // 000000005088: 7F321199
	v_cvt_i32_f32_e32 v154, v154                               // 00000000508C: 7F34119A
	v_cvt_i32_f32_e32 v155, v155                               // 000000005090: 7F36119B
	v_perm_b32 v134, v153, v152, s53                           // 000000005094: D1ED0086 00D73199
	v_perm_b32 v134, v154, v134, s54                           // 00000000509C: D1ED0086 00DB0D9A
	v_perm_b32 v134, v155, v134, s55                           // 0000000050A4: D1ED0086 00DF0D9B
	v_mul_f32_e32 v156, v23, v156                              // 0000000050AC: 0B393917
	v_mul_f32_e32 v157, v23, v157                              // 0000000050B0: 0B3B3B17
	v_mul_f32_e32 v158, v23, v158                              // 0000000050B4: 0B3D3D17
	v_mul_f32_e32 v159, v23, v159                              // 0000000050B8: 0B3F3F17
	v_cvt_i32_f32_e32 v156, v156                               // 0000000050BC: 7F38119C
	v_cvt_i32_f32_e32 v157, v157                               // 0000000050C0: 7F3A119D
	v_cvt_i32_f32_e32 v158, v158                               // 0000000050C4: 7F3C119E
	v_cvt_i32_f32_e32 v159, v159                               // 0000000050C8: 7F3E119F
	v_perm_b32 v135, v157, v156, s53                           // 0000000050CC: D1ED0087 00D7399D
	v_perm_b32 v135, v158, v135, s54                           // 0000000050D4: D1ED0087 00DB0F9E
	v_perm_b32 v135, v159, v135, s55                           // 0000000050DC: D1ED0087 00DF0F9F
	v_mul_f32_e32 v160, v22, v160                              // 0000000050E4: 0B414116
	v_mul_f32_e32 v161, v22, v161                              // 0000000050E8: 0B434316
	v_mul_f32_e32 v162, v22, v162                              // 0000000050EC: 0B454516
	v_mul_f32_e32 v163, v22, v163                              // 0000000050F0: 0B474716
	v_cvt_i32_f32_e32 v160, v160                               // 0000000050F4: 7F4011A0
	v_cvt_i32_f32_e32 v161, v161                               // 0000000050F8: 7F4211A1
	v_cvt_i32_f32_e32 v162, v162                               // 0000000050FC: 7F4411A2
	v_cvt_i32_f32_e32 v163, v163                               // 000000005100: 7F4611A3
	v_perm_b32 v136, v161, v160, s53                           // 000000005104: D1ED0088 00D741A1
	v_perm_b32 v136, v162, v136, s54                           // 00000000510C: D1ED0088 00DB11A2
	v_perm_b32 v136, v163, v136, s55                           // 000000005114: D1ED0088 00DF11A3
	v_mul_f32_e32 v164, v23, v164                              // 00000000511C: 0B494917
	v_mul_f32_e32 v165, v23, v165                              // 000000005120: 0B4B4B17
	v_mul_f32_e32 v166, v23, v166                              // 000000005124: 0B4D4D17
	v_mul_f32_e32 v167, v23, v167                              // 000000005128: 0B4F4F17
	v_cvt_i32_f32_e32 v164, v164                               // 00000000512C: 7F4811A4
	v_cvt_i32_f32_e32 v165, v165                               // 000000005130: 7F4A11A5
	v_cvt_i32_f32_e32 v166, v166                               // 000000005134: 7F4C11A6
	v_cvt_i32_f32_e32 v167, v167                               // 000000005138: 7F4E11A7
	v_perm_b32 v137, v165, v164, s53                           // 00000000513C: D1ED0089 00D749A5
	v_perm_b32 v137, v166, v137, s54                           // 000000005144: D1ED0089 00DB13A6
	v_perm_b32 v137, v167, v137, s55                           // 00000000514C: D1ED0089 00DF13A7
	v_rcp_f32_e32 v24, v22                                     // 000000005154: 7E304516
	v_rcp_f32_e32 v25, v23                                     // 000000005158: 7E324517
	v_lshrrev_b32_e32 v48, 5, v0                               // 00000000515C: 20600085
	v_lshlrev_b32_e32 v49, 5, v48                              // 000000005160: 24626085
	v_and_b32_e32 v48, 31, v0                                  // 000000005164: 2660009F
	v_lshrrev_b32_e32 v50, 4, v48                              // 000000005168: 20646084
	v_add_u32_e32 v49, v50, v49                                // 00000000516C: 68626332
	v_and_b32_e32 v48, 15, v0                                  // 000000005170: 2660008F
	v_lshlrev_b32_e32 v48, 1, v48                              // 000000005174: 24606081
	v_add_u32_e32 v49, v48, v49                                // 000000005178: 68626330
	v_lshlrev_b32_e32 v48, 2, v49                              // 00000000517C: 24606282
	s_mul_i32 s60, 0x100, s7                                   // 000000005180: 923C07FF 00000100
	v_add_u32_e64 v48, v48, s60                                // 000000005188: D1340030 00007930
	ds_write_b32 v48, v128 offset:18688                        // 000000005190: D81A4900 00008030
	ds_write_b32 v48, v129 offset:23808                        // 000000005198: D81A5D00 00008130
	ds_write_b32 v48, v130 offset:19712                        // 0000000051A0: D81A4D00 00008230
	ds_write_b32 v48, v131 offset:24832                        // 0000000051A8: D81A6100 00008330
	ds_write_b32 v48, v132 offset:20736                        // 0000000051B0: D81A5100 00008430
	ds_write_b32 v48, v133 offset:25856                        // 0000000051B8: D81A6500 00008530
	ds_write_b32 v48, v134 offset:21760                        // 0000000051C0: D81A5500 00008630
	ds_write_b32 v48, v135 offset:26880                        // 0000000051C8: D81A6900 00008730
	ds_write_b32 v48, v136 offset:22784                        // 0000000051D0: D81A5900 00008830
	ds_write_b32 v48, v137 offset:27904                        // 0000000051D8: D81A6D00 00008930
	s_waitcnt lgkmcnt(0)                                       // 0000000051E0: BF8CC07F
	s_barrier                                                  // 0000000051E4: BF8A0000
	v_lshrrev_b32_e32 v48, 4, v0                               // 0000000051E8: 20600084
	v_lshlrev_b32_e32 v49, 6, v48                              // 0000000051EC: 24626086
	v_and_b32_e32 v48, 15, v0                                  // 0000000051F0: 2660008F
	v_lshlrev_b32_e32 v48, 1, v48                              // 0000000051F4: 24606081
	v_add_u32_e32 v49, v48, v49                                // 0000000051F8: 68626330
	v_lshlrev_b32_e32 v48, 2, v49                              // 0000000051FC: 24606282
	ds_read_b64 v[128:129], v48 offset:18688                   // 000000005200: D8EC4900 80000030
	ds_read_b64 v[130:131], v48 offset:18816                   // 000000005208: D8EC4980 82000030
	ds_read_b64 v[132:133], v48 offset:19712                   // 000000005210: D8EC4D00 84000030
	ds_read_b64 v[134:135], v48 offset:19840                   // 000000005218: D8EC4D80 86000030
	ds_read_b64 v[136:137], v48 offset:20736                   // 000000005220: D8EC5100 88000030
	ds_read_b64 v[138:139], v48 offset:20864                   // 000000005228: D8EC5180 8A000030
	ds_read_b64 v[140:141], v48 offset:21760                   // 000000005230: D8EC5500 8C000030
	ds_read_b64 v[142:143], v48 offset:21888                   // 000000005238: D8EC5580 8E000030
	ds_read_b64 v[144:145], v48 offset:22784                   // 000000005240: D8EC5900 90000030
	ds_read_b64 v[146:147], v48 offset:22912                   // 000000005248: D8EC5980 92000030
	ds_read_b64 v[148:149], v48 offset:23808                   // 000000005250: D8EC5D00 94000030
	ds_read_b64 v[150:151], v48 offset:23936                   // 000000005258: D8EC5D80 96000030
	ds_read_b64 v[152:153], v48 offset:24832                   // 000000005260: D8EC6100 98000030
	ds_read_b64 v[154:155], v48 offset:24960                   // 000000005268: D8EC6180 9A000030
	ds_read_b64 v[156:157], v48 offset:25856                   // 000000005270: D8EC6500 9C000030
	ds_read_b64 v[158:159], v48 offset:25984                   // 000000005278: D8EC6580 9E000030
	ds_read_b64 v[160:161], v48 offset:26880                   // 000000005280: D8EC6900 A0000030
	ds_read_b64 v[162:163], v48 offset:27008                   // 000000005288: D8EC6980 A2000030
	ds_read_b64 v[164:165], v48 offset:27904                   // 000000005290: D8EC6D00 A4000030
	ds_read_b64 v[166:167], v48 offset:28032                   // 000000005298: D8EC6D80 A6000030
	s_add_u32 s12, s56, s12                                    // 0000000052A0: 800C0C38
	s_addc_u32 s13, 0, s13                                     // 0000000052A4: 820D0D80
	s_add_u32 s16, s79, s16                                    // 0000000052A8: 8010104F
	s_addc_u32 s17, 0, s17                                     // 0000000052AC: 82111180
	s_mov_b32 s80, 0                                           // 0000000052B0: BED00080
	s_waitcnt vmcnt(0) expcnt(0) lgkmcnt(0)                    // 0000000052B4: BF8C0000

00000000000052b8 <label_092E>:
	s_waitcnt vmcnt(33)                                        // 0000000052B8: BF8C8F71
	s_barrier                                                  // 0000000052BC: BF8A0000
	v_mfma_i32_16x16x32_i8 v[168:171], a[0:1], v[128:129], 0   // 0000000052C0: D3D700A8 0A030100
	v_mfma_i32_16x16x32_i8 v[168:171], a[2:3], v[130:131], v[168:171]// 0000000052C8: D3D700A8 0EA30502
	buffer_load_dwordx4 a[80:83], v39, s[12:15], 0 offen       // 0000000052D0: E05C1000 80835027
	v_mfma_i32_16x16x32_i8 v[172:175], a[0:1], v[148:149], 0   // 0000000052D8: D3D700AC 0A032900
	v_mfma_i32_16x16x32_i8 v[172:175], a[2:3], v[150:151], v[172:175]// 0000000052E0: D3D700AC 0EB32D02
	v_mfma_i32_16x16x32_i8 v[176:179], a[4:5], v[128:129], 0   // 0000000052E8: D3D700B0 0A030104
	v_mfma_i32_16x16x32_i8 v[176:179], a[6:7], v[130:131], v[176:179]// 0000000052F0: D3D700B0 0EC30506
	buffer_load_dwordx4 a[84:87], v40, s[12:15], 0 offen       // 0000000052F8: E05C1000 80835428
	v_mfma_i32_16x16x32_i8 v[180:183], a[4:5], v[148:149], 0   // 000000005300: D3D700B4 0A032904
	v_mfma_i32_16x16x32_i8 v[180:183], a[6:7], v[150:151], v[180:183]// 000000005308: D3D700B4 0ED32D06
	v_mfma_i32_16x16x32_i8 v[184:187], a[8:9], v[128:129], 0   // 000000005310: D3D700B8 0A030108
	v_mfma_i32_16x16x32_i8 v[184:187], a[10:11], v[130:131], v[184:187]// 000000005318: D3D700B8 0EE3050A
	buffer_load_dwordx4 a[88:91], v41, s[12:15], 0 offen       // 000000005320: E05C1000 80835829
	v_mfma_i32_16x16x32_i8 v[188:191], a[8:9], v[148:149], 0   // 000000005328: D3D700BC 0A032908
	v_mfma_i32_16x16x32_i8 v[188:191], a[10:11], v[150:151], v[188:191]// 000000005330: D3D700BC 0EF32D0A
	v_mfma_i32_16x16x32_i8 v[192:195], a[12:13], v[128:129], 0 // 000000005338: D3D700C0 0A03010C
	v_mfma_i32_16x16x32_i8 v[192:195], a[14:15], v[130:131], v[192:195]// 000000005340: D3D700C0 0F03050E
	buffer_load_dwordx4 a[92:95], v42, s[12:15], 0 offen       // 000000005348: E05C1000 80835C2A
	s_add_u32 s12, s78, s12                                    // 000000005350: 800C0C4E
	s_addc_u32 s13, 0, s13                                     // 000000005354: 820D0D80
	v_mfma_i32_16x16x32_i8 v[196:199], a[12:13], v[148:149], 0 // 000000005358: D3D700C4 0A03290C
	v_mfma_i32_16x16x32_i8 v[196:199], a[14:15], v[150:151], v[196:199]// 000000005360: D3D700C4 0F132D0E
	s_waitcnt vmcnt(33)                                        // 000000005368: BF8C8F71
	v_mfma_i32_16x16x32_i8 v[168:171], a[16:17], v[132:133], v[168:171]// 00000000536C: D3D700A8 0EA30910
	v_mfma_i32_16x16x32_i8 v[168:171], a[18:19], v[134:135], v[168:171]// 000000005374: D3D700A8 0EA30D12
	buffer_load_dwordx4 a[96:99], v39, s[12:15], 0 offen       // 00000000537C: E05C1000 80836027
	v_mfma_i32_16x16x32_i8 v[172:175], a[16:17], v[152:153], v[172:175]// 000000005384: D3D700AC 0EB33110
	v_mfma_i32_16x16x32_i8 v[172:175], a[18:19], v[154:155], v[172:175]// 00000000538C: D3D700AC 0EB33512
	v_mfma_i32_16x16x32_i8 v[176:179], a[20:21], v[132:133], v[176:179]// 000000005394: D3D700B0 0EC30914
	v_mfma_i32_16x16x32_i8 v[176:179], a[22:23], v[134:135], v[176:179]// 00000000539C: D3D700B0 0EC30D16
	buffer_load_dwordx4 a[100:103], v40, s[12:15], 0 offen     // 0000000053A4: E05C1000 80836428
	v_mfma_i32_16x16x32_i8 v[180:183], a[20:21], v[152:153], v[180:183]// 0000000053AC: D3D700B4 0ED33114
	v_mfma_i32_16x16x32_i8 v[180:183], a[22:23], v[154:155], v[180:183]// 0000000053B4: D3D700B4 0ED33516
	v_mfma_i32_16x16x32_i8 v[184:187], a[24:25], v[132:133], v[184:187]// 0000000053BC: D3D700B8 0EE30918
	v_mfma_i32_16x16x32_i8 v[184:187], a[26:27], v[134:135], v[184:187]// 0000000053C4: D3D700B8 0EE30D1A
	buffer_load_dwordx4 a[104:107], v41, s[12:15], 0 offen     // 0000000053CC: E05C1000 80836829
	v_mfma_i32_16x16x32_i8 v[188:191], a[24:25], v[152:153], v[188:191]// 0000000053D4: D3D700BC 0EF33118
	v_mfma_i32_16x16x32_i8 v[188:191], a[26:27], v[154:155], v[188:191]// 0000000053DC: D3D700BC 0EF3351A
	v_mfma_i32_16x16x32_i8 v[192:195], a[28:29], v[132:133], v[192:195]// 0000000053E4: D3D700C0 0F03091C
	v_mfma_i32_16x16x32_i8 v[192:195], a[30:31], v[134:135], v[192:195]// 0000000053EC: D3D700C0 0F030D1E
	buffer_load_dwordx4 a[108:111], v42, s[12:15], 0 offen     // 0000000053F4: E05C1000 80836C2A
	s_add_u32 s12, s78, s12                                    // 0000000053FC: 800C0C4E
	s_addc_u32 s13, 0, s13                                     // 000000005400: 820D0D80
	v_mfma_i32_16x16x32_i8 v[196:199], a[28:29], v[152:153], v[196:199]// 000000005404: D3D700C4 0F13311C
	v_mfma_i32_16x16x32_i8 v[196:199], a[30:31], v[154:155], v[196:199]// 00000000540C: D3D700C4 0F13351E
	s_waitcnt vmcnt(33)                                        // 000000005414: BF8C8F71
	v_mfma_i32_16x16x32_i8 v[168:171], a[32:33], v[136:137], v[168:171]// 000000005418: D3D700A8 0EA31120
	v_mfma_i32_16x16x32_i8 v[168:171], a[34:35], v[138:139], v[168:171]// 000000005420: D3D700A8 0EA31522
	buffer_load_dwordx4 a[112:115], v39, s[12:15], 0 offen     // 000000005428: E05C1000 80837027
	v_mfma_i32_16x16x32_i8 v[172:175], a[32:33], v[156:157], v[172:175]// 000000005430: D3D700AC 0EB33920
	v_mfma_i32_16x16x32_i8 v[172:175], a[34:35], v[158:159], v[172:175]// 000000005438: D3D700AC 0EB33D22
	v_mfma_i32_16x16x32_i8 v[176:179], a[36:37], v[136:137], v[176:179]// 000000005440: D3D700B0 0EC31124
	v_mfma_i32_16x16x32_i8 v[176:179], a[38:39], v[138:139], v[176:179]// 000000005448: D3D700B0 0EC31526
	buffer_load_dwordx4 a[116:119], v40, s[12:15], 0 offen     // 000000005450: E05C1000 80837428
	v_mfma_i32_16x16x32_i8 v[180:183], a[36:37], v[156:157], v[180:183]// 000000005458: D3D700B4 0ED33924
	v_mfma_i32_16x16x32_i8 v[180:183], a[38:39], v[158:159], v[180:183]// 000000005460: D3D700B4 0ED33D26
	v_mfma_i32_16x16x32_i8 v[184:187], a[40:41], v[136:137], v[184:187]// 000000005468: D3D700B8 0EE31128
	v_mfma_i32_16x16x32_i8 v[184:187], a[42:43], v[138:139], v[184:187]// 000000005470: D3D700B8 0EE3152A
	buffer_load_dwordx4 a[120:123], v41, s[12:15], 0 offen     // 000000005478: E05C1000 80837829
	v_mfma_i32_16x16x32_i8 v[188:191], a[40:41], v[156:157], v[188:191]// 000000005480: D3D700BC 0EF33928
	v_mfma_i32_16x16x32_i8 v[188:191], a[42:43], v[158:159], v[188:191]// 000000005488: D3D700BC 0EF33D2A
	v_mfma_i32_16x16x32_i8 v[192:195], a[44:45], v[136:137], v[192:195]// 000000005490: D3D700C0 0F03112C
	v_mfma_i32_16x16x32_i8 v[192:195], a[46:47], v[138:139], v[192:195]// 000000005498: D3D700C0 0F03152E
	buffer_load_dwordx4 a[124:127], v42, s[12:15], 0 offen     // 0000000054A0: E05C1000 80837C2A
	s_add_u32 s12, s78, s12                                    // 0000000054A8: 800C0C4E
	s_addc_u32 s13, 0, s13                                     // 0000000054AC: 820D0D80
	v_mfma_i32_16x16x32_i8 v[196:199], a[44:45], v[156:157], v[196:199]// 0000000054B0: D3D700C4 0F13392C
	v_mfma_i32_16x16x32_i8 v[196:199], a[46:47], v[158:159], v[196:199]// 0000000054B8: D3D700C4 0F133D2E
	s_waitcnt vmcnt(33)                                        // 0000000054C0: BF8C8F71
	v_mfma_i32_16x16x32_i8 v[168:171], a[48:49], v[140:141], v[168:171]// 0000000054C4: D3D700A8 0EA31930
	v_mfma_i32_16x16x32_i8 v[168:171], a[50:51], v[142:143], v[168:171]// 0000000054CC: D3D700A8 0EA31D32
	buffer_load_dwordx4 a[128:131], v39, s[12:15], 0 offen     // 0000000054D4: E05C1000 80838027
	v_mfma_i32_16x16x32_i8 v[172:175], a[48:49], v[160:161], v[172:175]// 0000000054DC: D3D700AC 0EB34130
	v_mfma_i32_16x16x32_i8 v[172:175], a[50:51], v[162:163], v[172:175]// 0000000054E4: D3D700AC 0EB34532
	v_mfma_i32_16x16x32_i8 v[176:179], a[52:53], v[140:141], v[176:179]// 0000000054EC: D3D700B0 0EC31934
	v_mfma_i32_16x16x32_i8 v[176:179], a[54:55], v[142:143], v[176:179]// 0000000054F4: D3D700B0 0EC31D36
	buffer_load_dwordx4 a[132:135], v40, s[12:15], 0 offen     // 0000000054FC: E05C1000 80838428
	v_mfma_i32_16x16x32_i8 v[180:183], a[52:53], v[160:161], v[180:183]// 000000005504: D3D700B4 0ED34134
	v_mfma_i32_16x16x32_i8 v[180:183], a[54:55], v[162:163], v[180:183]// 00000000550C: D3D700B4 0ED34536
	v_mfma_i32_16x16x32_i8 v[184:187], a[56:57], v[140:141], v[184:187]// 000000005514: D3D700B8 0EE31938
	v_mfma_i32_16x16x32_i8 v[184:187], a[58:59], v[142:143], v[184:187]// 00000000551C: D3D700B8 0EE31D3A
	buffer_load_dwordx4 a[136:139], v41, s[12:15], 0 offen     // 000000005524: E05C1000 80838829
	v_mfma_i32_16x16x32_i8 v[188:191], a[56:57], v[160:161], v[188:191]// 00000000552C: D3D700BC 0EF34138
	v_mfma_i32_16x16x32_i8 v[188:191], a[58:59], v[162:163], v[188:191]// 000000005534: D3D700BC 0EF3453A
	v_mfma_i32_16x16x32_i8 v[192:195], a[60:61], v[140:141], v[192:195]// 00000000553C: D3D700C0 0F03193C
	v_mfma_i32_16x16x32_i8 v[192:195], a[62:63], v[142:143], v[192:195]// 000000005544: D3D700C0 0F031D3E
	buffer_load_dwordx4 a[140:143], v42, s[12:15], 0 offen     // 00000000554C: E05C1000 80838C2A
	s_add_u32 s12, s78, s12                                    // 000000005554: 800C0C4E
	s_addc_u32 s13, 0, s13                                     // 000000005558: 820D0D80
	v_mfma_i32_16x16x32_i8 v[196:199], a[60:61], v[160:161], v[196:199]// 00000000555C: D3D700C4 0F13413C
	v_mfma_i32_16x16x32_i8 v[196:199], a[62:63], v[162:163], v[196:199]// 000000005564: D3D700C4 0F13453E
	s_waitcnt vmcnt(32)                                        // 00000000556C: BF8C8F70
	v_mfma_i32_16x16x32_i8 v[168:171], a[64:65], v[144:145], v[168:171]// 000000005570: D3D700A8 0EA32140
	v_mfma_i32_16x16x32_i8 v[168:171], a[66:67], v[146:147], v[168:171]// 000000005578: D3D700A8 0EA32542
	buffer_load_dwordx4 a[144:147], v39, s[12:15], 0 offen     // 000000005580: E05C1000 80839027
	v_mfma_i32_16x16x32_i8 v[172:175], a[64:65], v[164:165], v[172:175]// 000000005588: D3D700AC 0EB34940
	v_mfma_i32_16x16x32_i8 v[172:175], a[66:67], v[166:167], v[172:175]// 000000005590: D3D700AC 0EB34D42
	buffer_load_dword v13, v5, s[16:19], 0 offen               // 000000005598: E0501000 80040D05
	v_mfma_i32_16x16x32_i8 v[176:179], a[68:69], v[144:145], v[176:179]// 0000000055A0: D3D700B0 0EC32144
	v_mfma_i32_16x16x32_i8 v[176:179], a[70:71], v[146:147], v[176:179]// 0000000055A8: D3D700B0 0EC32546
	buffer_load_dwordx4 a[148:151], v40, s[12:15], 0 offen     // 0000000055B0: E05C1000 80839428
	v_mfma_i32_16x16x32_i8 v[180:183], a[68:69], v[164:165], v[180:183]// 0000000055B8: D3D700B4 0ED34944
	v_mfma_i32_16x16x32_i8 v[180:183], a[70:71], v[166:167], v[180:183]// 0000000055C0: D3D700B4 0ED34D46
	v_mfma_i32_16x16x32_i8 v[184:187], a[72:73], v[144:145], v[184:187]// 0000000055C8: D3D700B8 0EE32148
	v_mfma_i32_16x16x32_i8 v[184:187], a[74:75], v[146:147], v[184:187]// 0000000055D0: D3D700B8 0EE3254A
	buffer_load_dwordx4 a[152:155], v41, s[12:15], 0 offen     // 0000000055D8: E05C1000 80839829
	v_mfma_i32_16x16x32_i8 v[188:191], a[72:73], v[164:165], v[188:191]// 0000000055E0: D3D700BC 0EF34948
	v_mfma_i32_16x16x32_i8 v[188:191], a[74:75], v[166:167], v[188:191]// 0000000055E8: D3D700BC 0EF34D4A
	v_mfma_i32_16x16x32_i8 v[192:195], a[76:77], v[144:145], v[192:195]// 0000000055F0: D3D700C0 0F03214C
	v_mfma_i32_16x16x32_i8 v[192:195], a[78:79], v[146:147], v[192:195]// 0000000055F8: D3D700C0 0F03254E
	buffer_load_dwordx4 a[156:159], v42, s[12:15], 0 offen     // 000000005600: E05C1000 80839C2A
	v_mfma_i32_16x16x32_i8 v[196:199], a[76:77], v[164:165], v[196:199]// 000000005608: D3D700C4 0F13494C
	v_mfma_i32_16x16x32_i8 v[196:199], a[78:79], v[166:167], v[196:199]// 000000005610: D3D700C4 0F134D4E
	s_add_u32 s60, 0x200, s80                                  // 000000005618: 803C50FF 00000200
	s_cmp_lt_u32 s60, s81                                      // 000000005620: BF0A513C
	s_cselect_b32 s56, s56, 0                                  // 000000005624: 85388038
	s_cselect_b32 s78, s78, 0                                  // 000000005628: 854E804E
	s_cselect_b32 s79, s79, 0                                  // 00000000562C: 854F804F
	s_add_u32 s12, s56, s12                                    // 000000005630: 800C0C38
	s_addc_u32 s13, 0, s13                                     // 000000005634: 820D0D80
	s_add_u32 s16, s79, s16                                    // 000000005638: 8010104F
	s_addc_u32 s17, 0, s17                                     // 00000000563C: 82111180
	v_cvt_f32_i32_e32 v168, v168                               // 000000005640: 7F500BA8
	v_cvt_f32_i32_e32 v169, v169                               // 000000005644: 7F520BA9
	v_cvt_f32_i32_e32 v170, v170                               // 000000005648: 7F540BAA
	v_cvt_f32_i32_e32 v171, v171                               // 00000000564C: 7F560BAB
	v_mul_f32_e32 v168, v24, v168                              // 000000005650: 0B515118
	v_mul_f32_e32 v169, v24, v169                              // 000000005654: 0B535318
	v_mul_f32_e32 v170, v24, v170                              // 000000005658: 0B555518
	v_mul_f32_e32 v171, v24, v171                              // 00000000565C: 0B575718
	v_mul_f32_dpp v168, v12, v168 row_newbcast:0 row_mask:0xf bank_mask:0xf// 000000005660: 0B5150FA FF01500C
	v_mul_f32_dpp v169, v12, v169 row_newbcast:1 row_mask:0xf bank_mask:0xf// 000000005668: 0B5352FA FF01510C
	v_mul_f32_dpp v170, v12, v170 row_newbcast:2 row_mask:0xf bank_mask:0xf// 000000005670: 0B5554FA FF01520C
	v_mul_f32_dpp v171, v12, v171 row_newbcast:3 row_mask:0xf bank_mask:0xf// 000000005678: 0B5756FA FF01530C
	v_mul_f32_e32 v168, v20, v168                              // 000000005680: 0B515114
	v_mul_f32_e32 v169, v20, v169                              // 000000005684: 0B535314
	v_mul_f32_e32 v170, v20, v170                              // 000000005688: 0B555514
	v_mul_f32_e32 v171, v20, v171                              // 00000000568C: 0B575714
	v_cvt_f32_i32_e32 v172, v172                               // 000000005690: 7F580BAC
	v_cvt_f32_i32_e32 v173, v173                               // 000000005694: 7F5A0BAD
	v_cvt_f32_i32_e32 v174, v174                               // 000000005698: 7F5C0BAE
	v_cvt_f32_i32_e32 v175, v175                               // 00000000569C: 7F5E0BAF
	v_mul_f32_e32 v172, v25, v172                              // 0000000056A0: 0B595919
	v_mul_f32_e32 v173, v25, v173                              // 0000000056A4: 0B5B5B19
	v_mul_f32_e32 v174, v25, v174                              // 0000000056A8: 0B5D5D19
	v_mul_f32_e32 v175, v25, v175                              // 0000000056AC: 0B5F5F19
	v_mul_f32_dpp v172, v12, v172 row_newbcast:0 row_mask:0xf bank_mask:0xf// 0000000056B0: 0B5958FA FF01500C
	v_mul_f32_dpp v173, v12, v173 row_newbcast:1 row_mask:0xf bank_mask:0xf// 0000000056B8: 0B5B5AFA FF01510C
	v_mul_f32_dpp v174, v12, v174 row_newbcast:2 row_mask:0xf bank_mask:0xf// 0000000056C0: 0B5D5CFA FF01520C
	v_mul_f32_dpp v175, v12, v175 row_newbcast:3 row_mask:0xf bank_mask:0xf// 0000000056C8: 0B5F5EFA FF01530C
	v_mul_f32_e32 v172, v21, v172                              // 0000000056D0: 0B595915
	v_mul_f32_e32 v173, v21, v173                              // 0000000056D4: 0B5B5B15
	v_mul_f32_e32 v174, v21, v174                              // 0000000056D8: 0B5D5D15
	v_mul_f32_e32 v175, v21, v175                              // 0000000056DC: 0B5F5F15
	v_cvt_f32_i32_e32 v176, v176                               // 0000000056E0: 7F600BB0
	v_cvt_f32_i32_e32 v177, v177                               // 0000000056E4: 7F620BB1
	v_cvt_f32_i32_e32 v178, v178                               // 0000000056E8: 7F640BB2
	v_cvt_f32_i32_e32 v179, v179                               // 0000000056EC: 7F660BB3
	v_mul_f32_e32 v176, v24, v176                              // 0000000056F0: 0B616118
	v_mul_f32_e32 v177, v24, v177                              // 0000000056F4: 0B636318
	v_mul_f32_e32 v178, v24, v178                              // 0000000056F8: 0B656518
	v_mul_f32_e32 v179, v24, v179                              // 0000000056FC: 0B676718
	v_mul_f32_dpp v176, v12, v176 row_newbcast:4 row_mask:0xf bank_mask:0xf// 000000005700: 0B6160FA FF01540C
	v_mul_f32_dpp v177, v12, v177 row_newbcast:5 row_mask:0xf bank_mask:0xf// 000000005708: 0B6362FA FF01550C
	v_mul_f32_dpp v178, v12, v178 row_newbcast:6 row_mask:0xf bank_mask:0xf// 000000005710: 0B6564FA FF01560C
	v_mul_f32_dpp v179, v12, v179 row_newbcast:7 row_mask:0xf bank_mask:0xf// 000000005718: 0B6766FA FF01570C
	v_mul_f32_e32 v176, v20, v176                              // 000000005720: 0B616114
	v_mul_f32_e32 v177, v20, v177                              // 000000005724: 0B636314
	v_mul_f32_e32 v178, v20, v178                              // 000000005728: 0B656514
	v_mul_f32_e32 v179, v20, v179                              // 00000000572C: 0B676714
	v_cvt_f32_i32_e32 v180, v180                               // 000000005730: 7F680BB4
	v_cvt_f32_i32_e32 v181, v181                               // 000000005734: 7F6A0BB5
	v_cvt_f32_i32_e32 v182, v182                               // 000000005738: 7F6C0BB6
	v_cvt_f32_i32_e32 v183, v183                               // 00000000573C: 7F6E0BB7
	v_mul_f32_e32 v180, v25, v180                              // 000000005740: 0B696919
	v_mul_f32_e32 v181, v25, v181                              // 000000005744: 0B6B6B19
	v_mul_f32_e32 v182, v25, v182                              // 000000005748: 0B6D6D19
	v_mul_f32_e32 v183, v25, v183                              // 00000000574C: 0B6F6F19
	v_mul_f32_dpp v180, v12, v180 row_newbcast:4 row_mask:0xf bank_mask:0xf// 000000005750: 0B6968FA FF01540C
	v_mul_f32_dpp v181, v12, v181 row_newbcast:5 row_mask:0xf bank_mask:0xf// 000000005758: 0B6B6AFA FF01550C
	v_mul_f32_dpp v182, v12, v182 row_newbcast:6 row_mask:0xf bank_mask:0xf// 000000005760: 0B6D6CFA FF01560C
	v_mul_f32_dpp v183, v12, v183 row_newbcast:7 row_mask:0xf bank_mask:0xf// 000000005768: 0B6F6EFA FF01570C
	v_mul_f32_e32 v180, v21, v180                              // 000000005770: 0B696915
	v_mul_f32_e32 v181, v21, v181                              // 000000005774: 0B6B6B15
	v_mul_f32_e32 v182, v21, v182                              // 000000005778: 0B6D6D15
	v_mul_f32_e32 v183, v21, v183                              // 00000000577C: 0B6F6F15
	v_cvt_f32_i32_e32 v184, v184                               // 000000005780: 7F700BB8
	v_cvt_f32_i32_e32 v185, v185                               // 000000005784: 7F720BB9
	v_cvt_f32_i32_e32 v186, v186                               // 000000005788: 7F740BBA
	v_cvt_f32_i32_e32 v187, v187                               // 00000000578C: 7F760BBB
	v_mul_f32_e32 v184, v24, v184                              // 000000005790: 0B717118
	v_mul_f32_e32 v185, v24, v185                              // 000000005794: 0B737318
	v_mul_f32_e32 v186, v24, v186                              // 000000005798: 0B757518
	v_mul_f32_e32 v187, v24, v187                              // 00000000579C: 0B777718
	v_mul_f32_dpp v184, v12, v184 row_newbcast:8 row_mask:0xf bank_mask:0xf// 0000000057A0: 0B7170FA FF01580C
	v_mul_f32_dpp v185, v12, v185 row_newbcast:9 row_mask:0xf bank_mask:0xf// 0000000057A8: 0B7372FA FF01590C
	v_mul_f32_dpp v186, v12, v186 row_newbcast:10 row_mask:0xf bank_mask:0xf// 0000000057B0: 0B7574FA FF015A0C
	v_mul_f32_dpp v187, v12, v187 row_newbcast:11 row_mask:0xf bank_mask:0xf// 0000000057B8: 0B7776FA FF015B0C
	v_mul_f32_e32 v184, v20, v184                              // 0000000057C0: 0B717114
	v_mul_f32_e32 v185, v20, v185                              // 0000000057C4: 0B737314
	v_mul_f32_e32 v186, v20, v186                              // 0000000057C8: 0B757514
	v_mul_f32_e32 v187, v20, v187                              // 0000000057CC: 0B777714
	v_cvt_f32_i32_e32 v188, v188                               // 0000000057D0: 7F780BBC
	v_cvt_f32_i32_e32 v189, v189                               // 0000000057D4: 7F7A0BBD
	v_cvt_f32_i32_e32 v190, v190                               // 0000000057D8: 7F7C0BBE
	v_cvt_f32_i32_e32 v191, v191                               // 0000000057DC: 7F7E0BBF
	v_mul_f32_e32 v188, v25, v188                              // 0000000057E0: 0B797919
	v_mul_f32_e32 v189, v25, v189                              // 0000000057E4: 0B7B7B19
	v_mul_f32_e32 v190, v25, v190                              // 0000000057E8: 0B7D7D19
	v_mul_f32_e32 v191, v25, v191                              // 0000000057EC: 0B7F7F19
	v_mul_f32_dpp v188, v12, v188 row_newbcast:8 row_mask:0xf bank_mask:0xf// 0000000057F0: 0B7978FA FF01580C
	v_mul_f32_dpp v189, v12, v189 row_newbcast:9 row_mask:0xf bank_mask:0xf// 0000000057F8: 0B7B7AFA FF01590C
	v_mul_f32_dpp v190, v12, v190 row_newbcast:10 row_mask:0xf bank_mask:0xf// 000000005800: 0B7D7CFA FF015A0C
	v_mul_f32_dpp v191, v12, v191 row_newbcast:11 row_mask:0xf bank_mask:0xf// 000000005808: 0B7F7EFA FF015B0C
	v_mul_f32_e32 v188, v21, v188                              // 000000005810: 0B797915
	v_mul_f32_e32 v189, v21, v189                              // 000000005814: 0B7B7B15
	v_mul_f32_e32 v190, v21, v190                              // 000000005818: 0B7D7D15
	v_mul_f32_e32 v191, v21, v191                              // 00000000581C: 0B7F7F15
	v_cvt_f32_i32_e32 v192, v192                               // 000000005820: 7F800BC0
	v_cvt_f32_i32_e32 v193, v193                               // 000000005824: 7F820BC1
	v_cvt_f32_i32_e32 v194, v194                               // 000000005828: 7F840BC2
	v_cvt_f32_i32_e32 v195, v195                               // 00000000582C: 7F860BC3
	v_mul_f32_e32 v192, v24, v192                              // 000000005830: 0B818118
	v_mul_f32_e32 v193, v24, v193                              // 000000005834: 0B838318
	v_mul_f32_e32 v194, v24, v194                              // 000000005838: 0B858518
	v_mul_f32_e32 v195, v24, v195                              // 00000000583C: 0B878718
	v_mul_f32_dpp v192, v12, v192 row_newbcast:12 row_mask:0xf bank_mask:0xf// 000000005840: 0B8180FA FF015C0C
	v_mul_f32_dpp v193, v12, v193 row_newbcast:13 row_mask:0xf bank_mask:0xf// 000000005848: 0B8382FA FF015D0C
	v_mul_f32_dpp v194, v12, v194 row_newbcast:14 row_mask:0xf bank_mask:0xf// 000000005850: 0B8584FA FF015E0C
	v_mul_f32_dpp v195, v12, v195 row_newbcast:15 row_mask:0xf bank_mask:0xf// 000000005858: 0B8786FA FF015F0C
	v_mul_f32_e32 v192, v20, v192                              // 000000005860: 0B818114
	v_mul_f32_e32 v193, v20, v193                              // 000000005864: 0B838314
	v_mul_f32_e32 v194, v20, v194                              // 000000005868: 0B858514
	v_mul_f32_e32 v195, v20, v195                              // 00000000586C: 0B878714
	v_cvt_f32_i32_e32 v196, v196                               // 000000005870: 7F880BC4
	v_cvt_f32_i32_e32 v197, v197                               // 000000005874: 7F8A0BC5
	v_cvt_f32_i32_e32 v198, v198                               // 000000005878: 7F8C0BC6
	v_cvt_f32_i32_e32 v199, v199                               // 00000000587C: 7F8E0BC7
	v_mul_f32_e32 v196, v25, v196                              // 000000005880: 0B898919
	v_mul_f32_e32 v197, v25, v197                              // 000000005884: 0B8B8B19
	v_mul_f32_e32 v198, v25, v198                              // 000000005888: 0B8D8D19
	v_mul_f32_e32 v199, v25, v199                              // 00000000588C: 0B8F8F19
	v_mul_f32_dpp v196, v12, v196 row_newbcast:12 row_mask:0xf bank_mask:0xf// 000000005890: 0B8988FA FF015C0C
	v_mul_f32_dpp v197, v12, v197 row_newbcast:13 row_mask:0xf bank_mask:0xf// 000000005898: 0B8B8AFA FF015D0C
	v_mul_f32_dpp v198, v12, v198 row_newbcast:14 row_mask:0xf bank_mask:0xf// 0000000058A0: 0B8D8CFA FF015E0C
	v_mul_f32_dpp v199, v12, v199 row_newbcast:15 row_mask:0xf bank_mask:0xf// 0000000058A8: 0B8F8EFA FF015F0C
	v_mul_f32_e32 v196, v21, v196                              // 0000000058B0: 0B898915
	v_mul_f32_e32 v197, v21, v197                              // 0000000058B4: 0B8B8B15
	v_mul_f32_e32 v198, v21, v198                              // 0000000058B8: 0B8D8D15
	v_mul_f32_e32 v199, v21, v199                              // 0000000058BC: 0B8F8F15
	v_cmp_u_f32_e64 s[48:49], v168, v168                       // 0000000058C0: D0480030 000351A8
	v_add3_u32 v43, v168, v46, 1                               // 0000000058C8: D1FF002B 02065DA8
	v_cndmask_b32_e64 v48, v43, v45, s[48:49]                  // 0000000058D0: D1000030 00C25B2B
	v_cmp_u_f32_e64 s[48:49], v169, v169                       // 0000000058D8: D0480030 000353A9
	v_add3_u32 v43, v169, v46, 1                               // 0000000058E0: D1FF002B 02065DA9
	v_cndmask_b32_e64 v49, v43, v45, s[48:49]                  // 0000000058E8: D1000031 00C25B2B
	v_perm_b32 v168, v49, v48, s52                             // 0000000058F0: D1ED00A8 00D26131
	v_cmp_u_f32_e64 s[48:49], v170, v170                       // 0000000058F8: D0480030 000355AA
	v_add3_u32 v43, v170, v46, 1                               // 000000005900: D1FF002B 02065DAA
	v_cndmask_b32_e64 v48, v43, v45, s[48:49]                  // 000000005908: D1000030 00C25B2B
	v_cmp_u_f32_e64 s[48:49], v171, v171                       // 000000005910: D0480030 000357AB
	v_add3_u32 v43, v171, v46, 1                               // 000000005918: D1FF002B 02065DAB
	v_cndmask_b32_e64 v49, v43, v45, s[48:49]                  // 000000005920: D1000031 00C25B2B
	v_perm_b32 v169, v49, v48, s52                             // 000000005928: D1ED00A9 00D26131
	v_cmp_u_f32_e64 s[48:49], v172, v172                       // 000000005930: D0480030 000359AC
	v_add3_u32 v43, v172, v46, 1                               // 000000005938: D1FF002B 02065DAC
	v_cndmask_b32_e64 v48, v43, v45, s[48:49]                  // 000000005940: D1000030 00C25B2B
	v_cmp_u_f32_e64 s[48:49], v173, v173                       // 000000005948: D0480030 00035BAD
	v_add3_u32 v43, v173, v46, 1                               // 000000005950: D1FF002B 02065DAD
	v_cndmask_b32_e64 v49, v43, v45, s[48:49]                  // 000000005958: D1000031 00C25B2B
	v_perm_b32 v170, v49, v48, s52                             // 000000005960: D1ED00AA 00D26131
	v_cmp_u_f32_e64 s[48:49], v174, v174                       // 000000005968: D0480030 00035DAE
	v_add3_u32 v43, v174, v46, 1                               // 000000005970: D1FF002B 02065DAE
	v_cndmask_b32_e64 v48, v43, v45, s[48:49]                  // 000000005978: D1000030 00C25B2B
	v_cmp_u_f32_e64 s[48:49], v175, v175                       // 000000005980: D0480030 00035FAF
	v_add3_u32 v43, v175, v46, 1                               // 000000005988: D1FF002B 02065DAF
	v_cndmask_b32_e64 v49, v43, v45, s[48:49]                  // 000000005990: D1000031 00C25B2B
	v_perm_b32 v171, v49, v48, s52                             // 000000005998: D1ED00AB 00D26131
	v_cmp_u_f32_e64 s[48:49], v176, v176                       // 0000000059A0: D0480030 000361B0
	v_add3_u32 v43, v176, v46, 1                               // 0000000059A8: D1FF002B 02065DB0
	v_cndmask_b32_e64 v48, v43, v45, s[48:49]                  // 0000000059B0: D1000030 00C25B2B
	v_cmp_u_f32_e64 s[48:49], v177, v177                       // 0000000059B8: D0480030 000363B1
	v_add3_u32 v43, v177, v46, 1                               // 0000000059C0: D1FF002B 02065DB1
	v_cndmask_b32_e64 v49, v43, v45, s[48:49]                  // 0000000059C8: D1000031 00C25B2B
	v_perm_b32 v172, v49, v48, s52                             // 0000000059D0: D1ED00AC 00D26131
	v_cmp_u_f32_e64 s[48:49], v178, v178                       // 0000000059D8: D0480030 000365B2
	v_add3_u32 v43, v178, v46, 1                               // 0000000059E0: D1FF002B 02065DB2
	v_cndmask_b32_e64 v48, v43, v45, s[48:49]                  // 0000000059E8: D1000030 00C25B2B
	v_cmp_u_f32_e64 s[48:49], v179, v179                       // 0000000059F0: D0480030 000367B3
	v_add3_u32 v43, v179, v46, 1                               // 0000000059F8: D1FF002B 02065DB3
	v_cndmask_b32_e64 v49, v43, v45, s[48:49]                  // 000000005A00: D1000031 00C25B2B
	v_perm_b32 v173, v49, v48, s52                             // 000000005A08: D1ED00AD 00D26131
	v_cmp_u_f32_e64 s[48:49], v180, v180                       // 000000005A10: D0480030 000369B4
	v_add3_u32 v43, v180, v46, 1                               // 000000005A18: D1FF002B 02065DB4
	v_cndmask_b32_e64 v48, v43, v45, s[48:49]                  // 000000005A20: D1000030 00C25B2B
	v_cmp_u_f32_e64 s[48:49], v181, v181                       // 000000005A28: D0480030 00036BB5
	v_add3_u32 v43, v181, v46, 1                               // 000000005A30: D1FF002B 02065DB5
	v_cndmask_b32_e64 v49, v43, v45, s[48:49]                  // 000000005A38: D1000031 00C25B2B
	v_perm_b32 v174, v49, v48, s52                             // 000000005A40: D1ED00AE 00D26131
	v_cmp_u_f32_e64 s[48:49], v182, v182                       // 000000005A48: D0480030 00036DB6
	v_add3_u32 v43, v182, v46, 1                               // 000000005A50: D1FF002B 02065DB6
	v_cndmask_b32_e64 v48, v43, v45, s[48:49]                  // 000000005A58: D1000030 00C25B2B
	v_cmp_u_f32_e64 s[48:49], v183, v183                       // 000000005A60: D0480030 00036FB7
	v_add3_u32 v43, v183, v46, 1                               // 000000005A68: D1FF002B 02065DB7
	v_cndmask_b32_e64 v49, v43, v45, s[48:49]                  // 000000005A70: D1000031 00C25B2B
	v_perm_b32 v175, v49, v48, s52                             // 000000005A78: D1ED00AF 00D26131
	v_cmp_u_f32_e64 s[48:49], v184, v184                       // 000000005A80: D0480030 000371B8
	v_add3_u32 v43, v184, v46, 1                               // 000000005A88: D1FF002B 02065DB8
	v_cndmask_b32_e64 v48, v43, v45, s[48:49]                  // 000000005A90: D1000030 00C25B2B
	v_cmp_u_f32_e64 s[48:49], v185, v185                       // 000000005A98: D0480030 000373B9
	v_add3_u32 v43, v185, v46, 1                               // 000000005AA0: D1FF002B 02065DB9
	v_cndmask_b32_e64 v49, v43, v45, s[48:49]                  // 000000005AA8: D1000031 00C25B2B
	v_perm_b32 v176, v49, v48, s52                             // 000000005AB0: D1ED00B0 00D26131
	v_cmp_u_f32_e64 s[48:49], v186, v186                       // 000000005AB8: D0480030 000375BA
	v_add3_u32 v43, v186, v46, 1                               // 000000005AC0: D1FF002B 02065DBA
	v_cndmask_b32_e64 v48, v43, v45, s[48:49]                  // 000000005AC8: D1000030 00C25B2B
	v_cmp_u_f32_e64 s[48:49], v187, v187                       // 000000005AD0: D0480030 000377BB
	v_add3_u32 v43, v187, v46, 1                               // 000000005AD8: D1FF002B 02065DBB
	v_cndmask_b32_e64 v49, v43, v45, s[48:49]                  // 000000005AE0: D1000031 00C25B2B
	v_perm_b32 v177, v49, v48, s52                             // 000000005AE8: D1ED00B1 00D26131
	v_cmp_u_f32_e64 s[48:49], v188, v188                       // 000000005AF0: D0480030 000379BC
	v_add3_u32 v43, v188, v46, 1                               // 000000005AF8: D1FF002B 02065DBC
	v_cndmask_b32_e64 v48, v43, v45, s[48:49]                  // 000000005B00: D1000030 00C25B2B
	v_cmp_u_f32_e64 s[48:49], v189, v189                       // 000000005B08: D0480030 00037BBD
	v_add3_u32 v43, v189, v46, 1                               // 000000005B10: D1FF002B 02065DBD
	v_cndmask_b32_e64 v49, v43, v45, s[48:49]                  // 000000005B18: D1000031 00C25B2B
	v_perm_b32 v178, v49, v48, s52                             // 000000005B20: D1ED00B2 00D26131
	v_cmp_u_f32_e64 s[48:49], v190, v190                       // 000000005B28: D0480030 00037DBE
	v_add3_u32 v43, v190, v46, 1                               // 000000005B30: D1FF002B 02065DBE
	v_cndmask_b32_e64 v48, v43, v45, s[48:49]                  // 000000005B38: D1000030 00C25B2B
	v_cmp_u_f32_e64 s[48:49], v191, v191                       // 000000005B40: D0480030 00037FBF
	v_add3_u32 v43, v191, v46, 1                               // 000000005B48: D1FF002B 02065DBF
	v_cndmask_b32_e64 v49, v43, v45, s[48:49]                  // 000000005B50: D1000031 00C25B2B
	v_perm_b32 v179, v49, v48, s52                             // 000000005B58: D1ED00B3 00D26131
	v_cmp_u_f32_e64 s[48:49], v192, v192                       // 000000005B60: D0480030 000381C0
	v_add3_u32 v43, v192, v46, 1                               // 000000005B68: D1FF002B 02065DC0
	v_cndmask_b32_e64 v48, v43, v45, s[48:49]                  // 000000005B70: D1000030 00C25B2B
	v_cmp_u_f32_e64 s[48:49], v193, v193                       // 000000005B78: D0480030 000383C1
	v_add3_u32 v43, v193, v46, 1                               // 000000005B80: D1FF002B 02065DC1
	v_cndmask_b32_e64 v49, v43, v45, s[48:49]                  // 000000005B88: D1000031 00C25B2B
	v_perm_b32 v180, v49, v48, s52                             // 000000005B90: D1ED00B4 00D26131
	v_cmp_u_f32_e64 s[48:49], v194, v194                       // 000000005B98: D0480030 000385C2
	v_add3_u32 v43, v194, v46, 1                               // 000000005BA0: D1FF002B 02065DC2
	v_cndmask_b32_e64 v48, v43, v45, s[48:49]                  // 000000005BA8: D1000030 00C25B2B
	v_cmp_u_f32_e64 s[48:49], v195, v195                       // 000000005BB0: D0480030 000387C3
	v_add3_u32 v43, v195, v46, 1                               // 000000005BB8: D1FF002B 02065DC3
	v_cndmask_b32_e64 v49, v43, v45, s[48:49]                  // 000000005BC0: D1000031 00C25B2B
	v_perm_b32 v181, v49, v48, s52                             // 000000005BC8: D1ED00B5 00D26131
	v_cmp_u_f32_e64 s[48:49], v196, v196                       // 000000005BD0: D0480030 000389C4
	v_add3_u32 v43, v196, v46, 1                               // 000000005BD8: D1FF002B 02065DC4
	v_cndmask_b32_e64 v48, v43, v45, s[48:49]                  // 000000005BE0: D1000030 00C25B2B
	v_cmp_u_f32_e64 s[48:49], v197, v197                       // 000000005BE8: D0480030 00038BC5
	v_add3_u32 v43, v197, v46, 1                               // 000000005BF0: D1FF002B 02065DC5
	v_cndmask_b32_e64 v49, v43, v45, s[48:49]                  // 000000005BF8: D1000031 00C25B2B
	v_perm_b32 v182, v49, v48, s52                             // 000000005C00: D1ED00B6 00D26131
	v_cmp_u_f32_e64 s[48:49], v198, v198                       // 000000005C08: D0480030 00038DC6
	v_add3_u32 v43, v198, v46, 1                               // 000000005C10: D1FF002B 02065DC6
	v_cndmask_b32_e64 v48, v43, v45, s[48:49]                  // 000000005C18: D1000030 00C25B2B
	v_cmp_u_f32_e64 s[48:49], v199, v199                       // 000000005C20: D0480030 00038FC7
	v_add3_u32 v43, v199, v46, 1                               // 000000005C28: D1FF002B 02065DC7
	v_cndmask_b32_e64 v49, v43, v45, s[48:49]                  // 000000005C30: D1000031 00C25B2B
	v_perm_b32 v183, v49, v48, s52                             // 000000005C38: D1ED00B7 00D26131
	ds_write_b64 v3, v[168:169] offset:28928                   // 000000005C40: D89A7100 0000A803
	ds_write_b64 v3, v[170:171] offset:37632                   // 000000005C48: D89A9300 0000AA03
	ds_write_b64 v3, v[172:173] offset:31104                   // 000000005C50: D89A7980 0000AC03
	ds_write_b64 v3, v[174:175] offset:39808                   // 000000005C58: D89A9B80 0000AE03
	ds_write_b64 v3, v[176:177] offset:33280                   // 000000005C60: D89A8200 0000B003
	ds_write_b64 v3, v[178:179] offset:41984                   // 000000005C68: D89AA400 0000B203
	ds_write_b64 v3, v[180:181] offset:35456                   // 000000005C70: D89A8A80 0000B403
	ds_write_b64 v3, v[182:183] offset:44160                   // 000000005C78: D89AAC80 0000B603
	s_waitcnt lgkmcnt(0)                                       // 000000005C80: BF8CC07F
	s_barrier                                                  // 000000005C84: BF8A0000
	ds_read_b32 v64, v4 offset:28928                           // 000000005C88: D86C7100 40000004
	ds_read_b32 v65, v4 offset:33280                           // 000000005C90: D86C8200 41000004
	ds_read_b32 v66, v4 offset:28960                           // 000000005C98: D86C7120 42000004
	ds_read_b32 v67, v4 offset:33312                           // 000000005CA0: D86C8220 43000004
	ds_read_b32 v68, v4 offset:28992                           // 000000005CA8: D86C7140 44000004
	ds_read_b32 v69, v4 offset:33344                           // 000000005CB0: D86C8240 45000004
	ds_read_b32 v70, v4 offset:29024                           // 000000005CB8: D86C7160 46000004
	ds_read_b32 v71, v4 offset:33376                           // 000000005CC0: D86C8260 47000004
	ds_read_b32 v72, v4 offset:37632                           // 000000005CC8: D86C9300 48000004
	ds_read_b32 v73, v4 offset:41984                           // 000000005CD0: D86CA400 49000004
	ds_read_b32 v74, v4 offset:37664                           // 000000005CD8: D86C9320 4A000004
	ds_read_b32 v75, v4 offset:42016                           // 000000005CE0: D86CA420 4B000004
	ds_read_b32 v76, v4 offset:37696                           // 000000005CE8: D86C9340 4C000004
	ds_read_b32 v77, v4 offset:42048                           // 000000005CF0: D86CA440 4D000004
	ds_read_b32 v78, v4 offset:37728                           // 000000005CF8: D86C9360 4E000004
	ds_read_b32 v79, v4 offset:42080                           // 000000005D00: D86CA460 4F000004
	s_waitcnt lgkmcnt(0)                                       // 000000005D08: BF8CC07F
	s_mov_b64 exec, s[20:21]                                   // 000000005D0C: BEFE0114
	global_atomic_pk_add_bf16 v80, v64, s[8:9]                 // 000000005D10: DD488000 00084050
	s_mov_b64 exec, s[36:37]                                   // 000000005D18: BEFE0124
	s_mov_b64 exec, s[20:21]                                   // 000000005D1C: BEFE0114
	global_atomic_pk_add_bf16 v80, v65, s[8:9] offset:256      // 000000005D20: DD488100 00084150
	s_mov_b64 exec, s[36:37]                                   // 000000005D28: BEFE0124
	s_mov_b64 exec, s[22:23]                                   // 000000005D2C: BEFE0116
	global_atomic_pk_add_bf16 v82, v66, s[8:9]                 // 000000005D30: DD488000 00084252
	s_mov_b64 exec, s[36:37]                                   // 000000005D38: BEFE0124
	s_mov_b64 exec, s[22:23]                                   // 000000005D3C: BEFE0116
	global_atomic_pk_add_bf16 v82, v67, s[8:9] offset:256      // 000000005D40: DD488100 00084352
	s_mov_b64 exec, s[36:37]                                   // 000000005D48: BEFE0124
	s_mov_b64 exec, s[24:25]                                   // 000000005D4C: BEFE0118
	global_atomic_pk_add_bf16 v84, v68, s[8:9]                 // 000000005D50: DD488000 00084454
	s_mov_b64 exec, s[36:37]                                   // 000000005D58: BEFE0124
	s_mov_b64 exec, s[24:25]                                   // 000000005D5C: BEFE0118
	global_atomic_pk_add_bf16 v84, v69, s[8:9] offset:256      // 000000005D60: DD488100 00084554
	s_mov_b64 exec, s[36:37]                                   // 000000005D68: BEFE0124
	s_mov_b64 exec, s[26:27]                                   // 000000005D6C: BEFE011A
	global_atomic_pk_add_bf16 v86, v70, s[8:9]                 // 000000005D70: DD488000 00084656
	s_mov_b64 exec, s[36:37]                                   // 000000005D78: BEFE0124
	s_mov_b64 exec, s[26:27]                                   // 000000005D7C: BEFE011A
	global_atomic_pk_add_bf16 v86, v71, s[8:9] offset:256      // 000000005D80: DD488100 00084756
	s_mov_b64 exec, s[36:37]                                   // 000000005D88: BEFE0124
	s_mov_b64 exec, s[28:29]                                   // 000000005D8C: BEFE011C
	global_atomic_pk_add_bf16 v88, v72, s[8:9]                 // 000000005D90: DD488000 00084858
	s_mov_b64 exec, s[36:37]                                   // 000000005D98: BEFE0124
	s_mov_b64 exec, s[28:29]                                   // 000000005D9C: BEFE011C
	global_atomic_pk_add_bf16 v88, v73, s[8:9] offset:256      // 000000005DA0: DD488100 00084958
	s_mov_b64 exec, s[36:37]                                   // 000000005DA8: BEFE0124
	s_mov_b64 exec, s[30:31]                                   // 000000005DAC: BEFE011E
	global_atomic_pk_add_bf16 v90, v74, s[8:9]                 // 000000005DB0: DD488000 00084A5A
	s_mov_b64 exec, s[36:37]                                   // 000000005DB8: BEFE0124
	s_mov_b64 exec, s[30:31]                                   // 000000005DBC: BEFE011E
	global_atomic_pk_add_bf16 v90, v75, s[8:9] offset:256      // 000000005DC0: DD488100 00084B5A
	s_mov_b64 exec, s[36:37]                                   // 000000005DC8: BEFE0124
	s_mov_b64 exec, s[32:33]                                   // 000000005DCC: BEFE0120
	global_atomic_pk_add_bf16 v92, v76, s[8:9]                 // 000000005DD0: DD488000 00084C5C
	s_mov_b64 exec, s[36:37]                                   // 000000005DD8: BEFE0124
	s_mov_b64 exec, s[32:33]                                   // 000000005DDC: BEFE0120
	global_atomic_pk_add_bf16 v92, v77, s[8:9] offset:256      // 000000005DE0: DD488100 00084D5C
	s_mov_b64 exec, s[36:37]                                   // 000000005DE8: BEFE0124
	s_mov_b64 exec, s[34:35]                                   // 000000005DEC: BEFE0122
	global_atomic_pk_add_bf16 v94, v78, s[8:9]                 // 000000005DF0: DD488000 00084E5E
	s_mov_b64 exec, s[36:37]                                   // 000000005DF8: BEFE0124
	s_mov_b64 exec, s[34:35]                                   // 000000005DFC: BEFE0122
	global_atomic_pk_add_bf16 v94, v79, s[8:9] offset:256      // 000000005E00: DD488100 00084F5E
	s_mov_b64 exec, s[36:37]                                   // 000000005E08: BEFE0124
	s_add_u32 s8, s59, s8                                      // 000000005E0C: 8008083B
	s_addc_u32 s9, 0, s9                                       // 000000005E10: 82090980
	s_addk_i32 s80, 0x100                                      // 000000005E14: B7500100
	s_cmp_lt_i32 s80, s81                                      // 000000005E18: BF045150
	s_cbranch_scc0 label_0EE3                                  // 000000005E1C: BF8402DB
	s_waitcnt vmcnt(33)                                        // 000000005E20: BF8C8F71
	s_barrier                                                  // 000000005E24: BF8A0000
	v_mfma_i32_16x16x32_i8 v[200:203], a[80:81], v[128:129], 0 // 000000005E28: D3D700C8 0A030150
	v_mfma_i32_16x16x32_i8 v[200:203], a[82:83], v[130:131], v[200:203]// 000000005E30: D3D700C8 0F230552
	buffer_load_dwordx4 a[0:3], v39, s[12:15], 0 offen         // 000000005E38: E05C1000 80830027
	v_mfma_i32_16x16x32_i8 v[204:207], a[80:81], v[148:149], 0 // 000000005E40: D3D700CC 0A032950
	v_mfma_i32_16x16x32_i8 v[204:207], a[82:83], v[150:151], v[204:207]// 000000005E48: D3D700CC 0F332D52
	v_mfma_i32_16x16x32_i8 v[208:211], a[84:85], v[128:129], 0 // 000000005E50: D3D700D0 0A030154
	v_mfma_i32_16x16x32_i8 v[208:211], a[86:87], v[130:131], v[208:211]// 000000005E58: D3D700D0 0F430556
	buffer_load_dwordx4 a[4:7], v40, s[12:15], 0 offen         // 000000005E60: E05C1000 80830428
	v_mfma_i32_16x16x32_i8 v[212:215], a[84:85], v[148:149], 0 // 000000005E68: D3D700D4 0A032954
	v_mfma_i32_16x16x32_i8 v[212:215], a[86:87], v[150:151], v[212:215]// 000000005E70: D3D700D4 0F532D56
	v_mfma_i32_16x16x32_i8 v[216:219], a[88:89], v[128:129], 0 // 000000005E78: D3D700D8 0A030158
	v_mfma_i32_16x16x32_i8 v[216:219], a[90:91], v[130:131], v[216:219]// 000000005E80: D3D700D8 0F63055A
	buffer_load_dwordx4 a[8:11], v41, s[12:15], 0 offen        // 000000005E88: E05C1000 80830829
	v_mfma_i32_16x16x32_i8 v[220:223], a[88:89], v[148:149], 0 // 000000005E90: D3D700DC 0A032958
	v_mfma_i32_16x16x32_i8 v[220:223], a[90:91], v[150:151], v[220:223]// 000000005E98: D3D700DC 0F732D5A
	v_mfma_i32_16x16x32_i8 v[224:227], a[92:93], v[128:129], 0 // 000000005EA0: D3D700E0 0A03015C
	v_mfma_i32_16x16x32_i8 v[224:227], a[94:95], v[130:131], v[224:227]// 000000005EA8: D3D700E0 0F83055E
	buffer_load_dwordx4 a[12:15], v42, s[12:15], 0 offen       // 000000005EB0: E05C1000 80830C2A
	s_add_u32 s12, s78, s12                                    // 000000005EB8: 800C0C4E
	s_addc_u32 s13, 0, s13                                     // 000000005EBC: 820D0D80
	v_mfma_i32_16x16x32_i8 v[228:231], a[92:93], v[148:149], 0 // 000000005EC0: D3D700E4 0A03295C
	v_mfma_i32_16x16x32_i8 v[228:231], a[94:95], v[150:151], v[228:231]// 000000005EC8: D3D700E4 0F932D5E
	s_waitcnt vmcnt(33)                                        // 000000005ED0: BF8C8F71
	v_mfma_i32_16x16x32_i8 v[200:203], a[96:97], v[132:133], v[200:203]// 000000005ED4: D3D700C8 0F230960
	v_mfma_i32_16x16x32_i8 v[200:203], a[98:99], v[134:135], v[200:203]// 000000005EDC: D3D700C8 0F230D62
	buffer_load_dwordx4 a[16:19], v39, s[12:15], 0 offen       // 000000005EE4: E05C1000 80831027
	v_mfma_i32_16x16x32_i8 v[204:207], a[96:97], v[152:153], v[204:207]// 000000005EEC: D3D700CC 0F333160
	v_mfma_i32_16x16x32_i8 v[204:207], a[98:99], v[154:155], v[204:207]// 000000005EF4: D3D700CC 0F333562
	v_mfma_i32_16x16x32_i8 v[208:211], a[100:101], v[132:133], v[208:211]// 000000005EFC: D3D700D0 0F430964
	v_mfma_i32_16x16x32_i8 v[208:211], a[102:103], v[134:135], v[208:211]// 000000005F04: D3D700D0 0F430D66
	buffer_load_dwordx4 a[20:23], v40, s[12:15], 0 offen       // 000000005F0C: E05C1000 80831428
	v_mfma_i32_16x16x32_i8 v[212:215], a[100:101], v[152:153], v[212:215]// 000000005F14: D3D700D4 0F533164
	v_mfma_i32_16x16x32_i8 v[212:215], a[102:103], v[154:155], v[212:215]// 000000005F1C: D3D700D4 0F533566
	v_mfma_i32_16x16x32_i8 v[216:219], a[104:105], v[132:133], v[216:219]// 000000005F24: D3D700D8 0F630968
	v_mfma_i32_16x16x32_i8 v[216:219], a[106:107], v[134:135], v[216:219]// 000000005F2C: D3D700D8 0F630D6A
	buffer_load_dwordx4 a[24:27], v41, s[12:15], 0 offen       // 000000005F34: E05C1000 80831829
	v_mfma_i32_16x16x32_i8 v[220:223], a[104:105], v[152:153], v[220:223]// 000000005F3C: D3D700DC 0F733168
	v_mfma_i32_16x16x32_i8 v[220:223], a[106:107], v[154:155], v[220:223]// 000000005F44: D3D700DC 0F73356A
	v_mfma_i32_16x16x32_i8 v[224:227], a[108:109], v[132:133], v[224:227]// 000000005F4C: D3D700E0 0F83096C
	v_mfma_i32_16x16x32_i8 v[224:227], a[110:111], v[134:135], v[224:227]// 000000005F54: D3D700E0 0F830D6E
	buffer_load_dwordx4 a[28:31], v42, s[12:15], 0 offen       // 000000005F5C: E05C1000 80831C2A
	s_add_u32 s12, s78, s12                                    // 000000005F64: 800C0C4E
	s_addc_u32 s13, 0, s13                                     // 000000005F68: 820D0D80
	v_mfma_i32_16x16x32_i8 v[228:231], a[108:109], v[152:153], v[228:231]// 000000005F6C: D3D700E4 0F93316C
	v_mfma_i32_16x16x32_i8 v[228:231], a[110:111], v[154:155], v[228:231]// 000000005F74: D3D700E4 0F93356E
	s_waitcnt vmcnt(33)                                        // 000000005F7C: BF8C8F71
	v_mfma_i32_16x16x32_i8 v[200:203], a[112:113], v[136:137], v[200:203]// 000000005F80: D3D700C8 0F231170
	v_mfma_i32_16x16x32_i8 v[200:203], a[114:115], v[138:139], v[200:203]// 000000005F88: D3D700C8 0F231572
	buffer_load_dwordx4 a[32:35], v39, s[12:15], 0 offen       // 000000005F90: E05C1000 80832027
	v_mfma_i32_16x16x32_i8 v[204:207], a[112:113], v[156:157], v[204:207]// 000000005F98: D3D700CC 0F333970
	v_mfma_i32_16x16x32_i8 v[204:207], a[114:115], v[158:159], v[204:207]// 000000005FA0: D3D700CC 0F333D72
	v_mfma_i32_16x16x32_i8 v[208:211], a[116:117], v[136:137], v[208:211]// 000000005FA8: D3D700D0 0F431174
	v_mfma_i32_16x16x32_i8 v[208:211], a[118:119], v[138:139], v[208:211]// 000000005FB0: D3D700D0 0F431576
	buffer_load_dwordx4 a[36:39], v40, s[12:15], 0 offen       // 000000005FB8: E05C1000 80832428
	v_mfma_i32_16x16x32_i8 v[212:215], a[116:117], v[156:157], v[212:215]// 000000005FC0: D3D700D4 0F533974
	v_mfma_i32_16x16x32_i8 v[212:215], a[118:119], v[158:159], v[212:215]// 000000005FC8: D3D700D4 0F533D76
	v_mfma_i32_16x16x32_i8 v[216:219], a[120:121], v[136:137], v[216:219]// 000000005FD0: D3D700D8 0F631178
	v_mfma_i32_16x16x32_i8 v[216:219], a[122:123], v[138:139], v[216:219]// 000000005FD8: D3D700D8 0F63157A
	buffer_load_dwordx4 a[40:43], v41, s[12:15], 0 offen       // 000000005FE0: E05C1000 80832829
	v_mfma_i32_16x16x32_i8 v[220:223], a[120:121], v[156:157], v[220:223]// 000000005FE8: D3D700DC 0F733978
	v_mfma_i32_16x16x32_i8 v[220:223], a[122:123], v[158:159], v[220:223]// 000000005FF0: D3D700DC 0F733D7A
	v_mfma_i32_16x16x32_i8 v[224:227], a[124:125], v[136:137], v[224:227]// 000000005FF8: D3D700E0 0F83117C
	v_mfma_i32_16x16x32_i8 v[224:227], a[126:127], v[138:139], v[224:227]// 000000006000: D3D700E0 0F83157E
	buffer_load_dwordx4 a[44:47], v42, s[12:15], 0 offen       // 000000006008: E05C1000 80832C2A
	s_add_u32 s12, s78, s12                                    // 000000006010: 800C0C4E
	s_addc_u32 s13, 0, s13                                     // 000000006014: 820D0D80
	v_mfma_i32_16x16x32_i8 v[228:231], a[124:125], v[156:157], v[228:231]// 000000006018: D3D700E4 0F93397C
	v_mfma_i32_16x16x32_i8 v[228:231], a[126:127], v[158:159], v[228:231]// 000000006020: D3D700E4 0F933D7E
	s_waitcnt vmcnt(33)                                        // 000000006028: BF8C8F71
	v_mfma_i32_16x16x32_i8 v[200:203], a[128:129], v[140:141], v[200:203]// 00000000602C: D3D700C8 0F231980
	v_mfma_i32_16x16x32_i8 v[200:203], a[130:131], v[142:143], v[200:203]// 000000006034: D3D700C8 0F231D82
	buffer_load_dwordx4 a[48:51], v39, s[12:15], 0 offen       // 00000000603C: E05C1000 80833027
	v_mfma_i32_16x16x32_i8 v[204:207], a[128:129], v[160:161], v[204:207]// 000000006044: D3D700CC 0F334180
	v_mfma_i32_16x16x32_i8 v[204:207], a[130:131], v[162:163], v[204:207]// 00000000604C: D3D700CC 0F334582
	v_mfma_i32_16x16x32_i8 v[208:211], a[132:133], v[140:141], v[208:211]// 000000006054: D3D700D0 0F431984
	v_mfma_i32_16x16x32_i8 v[208:211], a[134:135], v[142:143], v[208:211]// 00000000605C: D3D700D0 0F431D86
	buffer_load_dwordx4 a[52:55], v40, s[12:15], 0 offen       // 000000006064: E05C1000 80833428
	v_mfma_i32_16x16x32_i8 v[212:215], a[132:133], v[160:161], v[212:215]// 00000000606C: D3D700D4 0F534184
	v_mfma_i32_16x16x32_i8 v[212:215], a[134:135], v[162:163], v[212:215]// 000000006074: D3D700D4 0F534586
	v_mfma_i32_16x16x32_i8 v[216:219], a[136:137], v[140:141], v[216:219]// 00000000607C: D3D700D8 0F631988
	v_mfma_i32_16x16x32_i8 v[216:219], a[138:139], v[142:143], v[216:219]// 000000006084: D3D700D8 0F631D8A
	buffer_load_dwordx4 a[56:59], v41, s[12:15], 0 offen       // 00000000608C: E05C1000 80833829
	v_mfma_i32_16x16x32_i8 v[220:223], a[136:137], v[160:161], v[220:223]// 000000006094: D3D700DC 0F734188
	v_mfma_i32_16x16x32_i8 v[220:223], a[138:139], v[162:163], v[220:223]// 00000000609C: D3D700DC 0F73458A
	v_mfma_i32_16x16x32_i8 v[224:227], a[140:141], v[140:141], v[224:227]// 0000000060A4: D3D700E0 0F83198C
	v_mfma_i32_16x16x32_i8 v[224:227], a[142:143], v[142:143], v[224:227]// 0000000060AC: D3D700E0 0F831D8E
	buffer_load_dwordx4 a[60:63], v42, s[12:15], 0 offen       // 0000000060B4: E05C1000 80833C2A
	s_add_u32 s12, s78, s12                                    // 0000000060BC: 800C0C4E
	s_addc_u32 s13, 0, s13                                     // 0000000060C0: 820D0D80
	v_mfma_i32_16x16x32_i8 v[228:231], a[140:141], v[160:161], v[228:231]// 0000000060C4: D3D700E4 0F93418C
	v_mfma_i32_16x16x32_i8 v[228:231], a[142:143], v[162:163], v[228:231]// 0000000060CC: D3D700E4 0F93458E
	s_waitcnt vmcnt(32)                                        // 0000000060D4: BF8C8F70
	v_mfma_i32_16x16x32_i8 v[200:203], a[144:145], v[144:145], v[200:203]// 0000000060D8: D3D700C8 0F232190
	v_mfma_i32_16x16x32_i8 v[200:203], a[146:147], v[146:147], v[200:203]// 0000000060E0: D3D700C8 0F232592
	buffer_load_dwordx4 a[64:67], v39, s[12:15], 0 offen       // 0000000060E8: E05C1000 80834027
	v_mfma_i32_16x16x32_i8 v[204:207], a[144:145], v[164:165], v[204:207]// 0000000060F0: D3D700CC 0F334990
	v_mfma_i32_16x16x32_i8 v[204:207], a[146:147], v[166:167], v[204:207]// 0000000060F8: D3D700CC 0F334D92
	buffer_load_dword v12, v5, s[16:19], 0 offen               // 000000006100: E0501000 80040C05
	v_mfma_i32_16x16x32_i8 v[208:211], a[148:149], v[144:145], v[208:211]// 000000006108: D3D700D0 0F432194
	v_mfma_i32_16x16x32_i8 v[208:211], a[150:151], v[146:147], v[208:211]// 000000006110: D3D700D0 0F432596
	buffer_load_dwordx4 a[68:71], v40, s[12:15], 0 offen       // 000000006118: E05C1000 80834428
	v_mfma_i32_16x16x32_i8 v[212:215], a[148:149], v[164:165], v[212:215]// 000000006120: D3D700D4 0F534994
	v_mfma_i32_16x16x32_i8 v[212:215], a[150:151], v[166:167], v[212:215]// 000000006128: D3D700D4 0F534D96
	v_mfma_i32_16x16x32_i8 v[216:219], a[152:153], v[144:145], v[216:219]// 000000006130: D3D700D8 0F632198
	v_mfma_i32_16x16x32_i8 v[216:219], a[154:155], v[146:147], v[216:219]// 000000006138: D3D700D8 0F63259A
	buffer_load_dwordx4 a[72:75], v41, s[12:15], 0 offen       // 000000006140: E05C1000 80834829
	v_mfma_i32_16x16x32_i8 v[220:223], a[152:153], v[164:165], v[220:223]// 000000006148: D3D700DC 0F734998
	v_mfma_i32_16x16x32_i8 v[220:223], a[154:155], v[166:167], v[220:223]// 000000006150: D3D700DC 0F734D9A
	v_mfma_i32_16x16x32_i8 v[224:227], a[156:157], v[144:145], v[224:227]// 000000006158: D3D700E0 0F83219C
	v_mfma_i32_16x16x32_i8 v[224:227], a[158:159], v[146:147], v[224:227]// 000000006160: D3D700E0 0F83259E
	buffer_load_dwordx4 a[76:79], v42, s[12:15], 0 offen       // 000000006168: E05C1000 80834C2A
	v_mfma_i32_16x16x32_i8 v[228:231], a[156:157], v[164:165], v[228:231]// 000000006170: D3D700E4 0F93499C
	v_mfma_i32_16x16x32_i8 v[228:231], a[158:159], v[166:167], v[228:231]// 000000006178: D3D700E4 0F934D9E
	s_add_u32 s60, 0x200, s80                                  // 000000006180: 803C50FF 00000200
	s_cmp_lt_u32 s60, s81                                      // 000000006188: BF0A513C
	s_cselect_b32 s56, s56, 0                                  // 00000000618C: 85388038
	s_cselect_b32 s78, s78, 0                                  // 000000006190: 854E804E
	s_cselect_b32 s79, s79, 0                                  // 000000006194: 854F804F
	s_add_u32 s12, s56, s12                                    // 000000006198: 800C0C38
	s_addc_u32 s13, 0, s13                                     // 00000000619C: 820D0D80
	s_add_u32 s16, s79, s16                                    // 0000000061A0: 8010104F
	s_addc_u32 s17, 0, s17                                     // 0000000061A4: 82111180
	v_cvt_f32_i32_e32 v200, v200                               // 0000000061A8: 7F900BC8
	v_cvt_f32_i32_e32 v201, v201                               // 0000000061AC: 7F920BC9
	v_cvt_f32_i32_e32 v202, v202                               // 0000000061B0: 7F940BCA
	v_cvt_f32_i32_e32 v203, v203                               // 0000000061B4: 7F960BCB
	v_mul_f32_e32 v200, v24, v200                              // 0000000061B8: 0B919118
	v_mul_f32_e32 v201, v24, v201                              // 0000000061BC: 0B939318
	v_mul_f32_e32 v202, v24, v202                              // 0000000061C0: 0B959518
	v_mul_f32_e32 v203, v24, v203                              // 0000000061C4: 0B979718
	v_mul_f32_dpp v200, v13, v200 row_newbcast:0 row_mask:0xf bank_mask:0xf// 0000000061C8: 0B9190FA FF01500D
	v_mul_f32_dpp v201, v13, v201 row_newbcast:1 row_mask:0xf bank_mask:0xf// 0000000061D0: 0B9392FA FF01510D
	v_mul_f32_dpp v202, v13, v202 row_newbcast:2 row_mask:0xf bank_mask:0xf// 0000000061D8: 0B9594FA FF01520D
	v_mul_f32_dpp v203, v13, v203 row_newbcast:3 row_mask:0xf bank_mask:0xf// 0000000061E0: 0B9796FA FF01530D
	v_mul_f32_e32 v200, v20, v200                              // 0000000061E8: 0B919114
	v_mul_f32_e32 v201, v20, v201                              // 0000000061EC: 0B939314
	v_mul_f32_e32 v202, v20, v202                              // 0000000061F0: 0B959514
	v_mul_f32_e32 v203, v20, v203                              // 0000000061F4: 0B979714
	v_cvt_f32_i32_e32 v204, v204                               // 0000000061F8: 7F980BCC
	v_cvt_f32_i32_e32 v205, v205                               // 0000000061FC: 7F9A0BCD
	v_cvt_f32_i32_e32 v206, v206                               // 000000006200: 7F9C0BCE
	v_cvt_f32_i32_e32 v207, v207                               // 000000006204: 7F9E0BCF
	v_mul_f32_e32 v204, v25, v204                              // 000000006208: 0B999919
	v_mul_f32_e32 v205, v25, v205                              // 00000000620C: 0B9B9B19
	v_mul_f32_e32 v206, v25, v206                              // 000000006210: 0B9D9D19
	v_mul_f32_e32 v207, v25, v207                              // 000000006214: 0B9F9F19
	v_mul_f32_dpp v204, v13, v204 row_newbcast:0 row_mask:0xf bank_mask:0xf// 000000006218: 0B9998FA FF01500D
	v_mul_f32_dpp v205, v13, v205 row_newbcast:1 row_mask:0xf bank_mask:0xf// 000000006220: 0B9B9AFA FF01510D
	v_mul_f32_dpp v206, v13, v206 row_newbcast:2 row_mask:0xf bank_mask:0xf// 000000006228: 0B9D9CFA FF01520D
	v_mul_f32_dpp v207, v13, v207 row_newbcast:3 row_mask:0xf bank_mask:0xf// 000000006230: 0B9F9EFA FF01530D
	v_mul_f32_e32 v204, v21, v204                              // 000000006238: 0B999915
	v_mul_f32_e32 v205, v21, v205                              // 00000000623C: 0B9B9B15
	v_mul_f32_e32 v206, v21, v206                              // 000000006240: 0B9D9D15
	v_mul_f32_e32 v207, v21, v207                              // 000000006244: 0B9F9F15
	v_cvt_f32_i32_e32 v208, v208                               // 000000006248: 7FA00BD0
	v_cvt_f32_i32_e32 v209, v209                               // 00000000624C: 7FA20BD1
	v_cvt_f32_i32_e32 v210, v210                               // 000000006250: 7FA40BD2
	v_cvt_f32_i32_e32 v211, v211                               // 000000006254: 7FA60BD3
	v_mul_f32_e32 v208, v24, v208                              // 000000006258: 0BA1A118
	v_mul_f32_e32 v209, v24, v209                              // 00000000625C: 0BA3A318
	v_mul_f32_e32 v210, v24, v210                              // 000000006260: 0BA5A518
	v_mul_f32_e32 v211, v24, v211                              // 000000006264: 0BA7A718
	v_mul_f32_dpp v208, v13, v208 row_newbcast:4 row_mask:0xf bank_mask:0xf// 000000006268: 0BA1A0FA FF01540D
	v_mul_f32_dpp v209, v13, v209 row_newbcast:5 row_mask:0xf bank_mask:0xf// 000000006270: 0BA3A2FA FF01550D
	v_mul_f32_dpp v210, v13, v210 row_newbcast:6 row_mask:0xf bank_mask:0xf// 000000006278: 0BA5A4FA FF01560D
	v_mul_f32_dpp v211, v13, v211 row_newbcast:7 row_mask:0xf bank_mask:0xf// 000000006280: 0BA7A6FA FF01570D
	v_mul_f32_e32 v208, v20, v208                              // 000000006288: 0BA1A114
	v_mul_f32_e32 v209, v20, v209                              // 00000000628C: 0BA3A314
	v_mul_f32_e32 v210, v20, v210                              // 000000006290: 0BA5A514
	v_mul_f32_e32 v211, v20, v211                              // 000000006294: 0BA7A714
	v_cvt_f32_i32_e32 v212, v212                               // 000000006298: 7FA80BD4
	v_cvt_f32_i32_e32 v213, v213                               // 00000000629C: 7FAA0BD5
	v_cvt_f32_i32_e32 v214, v214                               // 0000000062A0: 7FAC0BD6
	v_cvt_f32_i32_e32 v215, v215                               // 0000000062A4: 7FAE0BD7
	v_mul_f32_e32 v212, v25, v212                              // 0000000062A8: 0BA9A919
	v_mul_f32_e32 v213, v25, v213                              // 0000000062AC: 0BABAB19
	v_mul_f32_e32 v214, v25, v214                              // 0000000062B0: 0BADAD19
	v_mul_f32_e32 v215, v25, v215                              // 0000000062B4: 0BAFAF19
	v_mul_f32_dpp v212, v13, v212 row_newbcast:4 row_mask:0xf bank_mask:0xf// 0000000062B8: 0BA9A8FA FF01540D
	v_mul_f32_dpp v213, v13, v213 row_newbcast:5 row_mask:0xf bank_mask:0xf// 0000000062C0: 0BABAAFA FF01550D
	v_mul_f32_dpp v214, v13, v214 row_newbcast:6 row_mask:0xf bank_mask:0xf// 0000000062C8: 0BADACFA FF01560D
	v_mul_f32_dpp v215, v13, v215 row_newbcast:7 row_mask:0xf bank_mask:0xf// 0000000062D0: 0BAFAEFA FF01570D
	v_mul_f32_e32 v212, v21, v212                              // 0000000062D8: 0BA9A915
	v_mul_f32_e32 v213, v21, v213                              // 0000000062DC: 0BABAB15
	v_mul_f32_e32 v214, v21, v214                              // 0000000062E0: 0BADAD15
	v_mul_f32_e32 v215, v21, v215                              // 0000000062E4: 0BAFAF15
	v_cvt_f32_i32_e32 v216, v216                               // 0000000062E8: 7FB00BD8
	v_cvt_f32_i32_e32 v217, v217                               // 0000000062EC: 7FB20BD9
	v_cvt_f32_i32_e32 v218, v218                               // 0000000062F0: 7FB40BDA
	v_cvt_f32_i32_e32 v219, v219                               // 0000000062F4: 7FB60BDB
	v_mul_f32_e32 v216, v24, v216                              // 0000000062F8: 0BB1B118
	v_mul_f32_e32 v217, v24, v217                              // 0000000062FC: 0BB3B318
	v_mul_f32_e32 v218, v24, v218                              // 000000006300: 0BB5B518
	v_mul_f32_e32 v219, v24, v219                              // 000000006304: 0BB7B718
	v_mul_f32_dpp v216, v13, v216 row_newbcast:8 row_mask:0xf bank_mask:0xf// 000000006308: 0BB1B0FA FF01580D
	v_mul_f32_dpp v217, v13, v217 row_newbcast:9 row_mask:0xf bank_mask:0xf// 000000006310: 0BB3B2FA FF01590D
	v_mul_f32_dpp v218, v13, v218 row_newbcast:10 row_mask:0xf bank_mask:0xf// 000000006318: 0BB5B4FA FF015A0D
	v_mul_f32_dpp v219, v13, v219 row_newbcast:11 row_mask:0xf bank_mask:0xf// 000000006320: 0BB7B6FA FF015B0D
	v_mul_f32_e32 v216, v20, v216                              // 000000006328: 0BB1B114
	v_mul_f32_e32 v217, v20, v217                              // 00000000632C: 0BB3B314
	v_mul_f32_e32 v218, v20, v218                              // 000000006330: 0BB5B514
	v_mul_f32_e32 v219, v20, v219                              // 000000006334: 0BB7B714
	v_cvt_f32_i32_e32 v220, v220                               // 000000006338: 7FB80BDC
	v_cvt_f32_i32_e32 v221, v221                               // 00000000633C: 7FBA0BDD
	v_cvt_f32_i32_e32 v222, v222                               // 000000006340: 7FBC0BDE
	v_cvt_f32_i32_e32 v223, v223                               // 000000006344: 7FBE0BDF
	v_mul_f32_e32 v220, v25, v220                              // 000000006348: 0BB9B919
	v_mul_f32_e32 v221, v25, v221                              // 00000000634C: 0BBBBB19
	v_mul_f32_e32 v222, v25, v222                              // 000000006350: 0BBDBD19
	v_mul_f32_e32 v223, v25, v223                              // 000000006354: 0BBFBF19
	v_mul_f32_dpp v220, v13, v220 row_newbcast:8 row_mask:0xf bank_mask:0xf// 000000006358: 0BB9B8FA FF01580D
	v_mul_f32_dpp v221, v13, v221 row_newbcast:9 row_mask:0xf bank_mask:0xf// 000000006360: 0BBBBAFA FF01590D
	v_mul_f32_dpp v222, v13, v222 row_newbcast:10 row_mask:0xf bank_mask:0xf// 000000006368: 0BBDBCFA FF015A0D
	v_mul_f32_dpp v223, v13, v223 row_newbcast:11 row_mask:0xf bank_mask:0xf// 000000006370: 0BBFBEFA FF015B0D
	v_mul_f32_e32 v220, v21, v220                              // 000000006378: 0BB9B915
	v_mul_f32_e32 v221, v21, v221                              // 00000000637C: 0BBBBB15
	v_mul_f32_e32 v222, v21, v222                              // 000000006380: 0BBDBD15
	v_mul_f32_e32 v223, v21, v223                              // 000000006384: 0BBFBF15
	v_cvt_f32_i32_e32 v224, v224                               // 000000006388: 7FC00BE0
	v_cvt_f32_i32_e32 v225, v225                               // 00000000638C: 7FC20BE1
	v_cvt_f32_i32_e32 v226, v226                               // 000000006390: 7FC40BE2
	v_cvt_f32_i32_e32 v227, v227                               // 000000006394: 7FC60BE3
	v_mul_f32_e32 v224, v24, v224                              // 000000006398: 0BC1C118
	v_mul_f32_e32 v225, v24, v225                              // 00000000639C: 0BC3C318
	v_mul_f32_e32 v226, v24, v226                              // 0000000063A0: 0BC5C518
	v_mul_f32_e32 v227, v24, v227                              // 0000000063A4: 0BC7C718
	v_mul_f32_dpp v224, v13, v224 row_newbcast:12 row_mask:0xf bank_mask:0xf// 0000000063A8: 0BC1C0FA FF015C0D
	v_mul_f32_dpp v225, v13, v225 row_newbcast:13 row_mask:0xf bank_mask:0xf// 0000000063B0: 0BC3C2FA FF015D0D
	v_mul_f32_dpp v226, v13, v226 row_newbcast:14 row_mask:0xf bank_mask:0xf// 0000000063B8: 0BC5C4FA FF015E0D
	v_mul_f32_dpp v227, v13, v227 row_newbcast:15 row_mask:0xf bank_mask:0xf// 0000000063C0: 0BC7C6FA FF015F0D
	v_mul_f32_e32 v224, v20, v224                              // 0000000063C8: 0BC1C114
	v_mul_f32_e32 v225, v20, v225                              // 0000000063CC: 0BC3C314
	v_mul_f32_e32 v226, v20, v226                              // 0000000063D0: 0BC5C514
	v_mul_f32_e32 v227, v20, v227                              // 0000000063D4: 0BC7C714
	v_cvt_f32_i32_e32 v228, v228                               // 0000000063D8: 7FC80BE4
	v_cvt_f32_i32_e32 v229, v229                               // 0000000063DC: 7FCA0BE5
	v_cvt_f32_i32_e32 v230, v230                               // 0000000063E0: 7FCC0BE6
	v_cvt_f32_i32_e32 v231, v231                               // 0000000063E4: 7FCE0BE7
	v_mul_f32_e32 v228, v25, v228                              // 0000000063E8: 0BC9C919
	v_mul_f32_e32 v229, v25, v229                              // 0000000063EC: 0BCBCB19
	v_mul_f32_e32 v230, v25, v230                              // 0000000063F0: 0BCDCD19
	v_mul_f32_e32 v231, v25, v231                              // 0000000063F4: 0BCFCF19
	v_mul_f32_dpp v228, v13, v228 row_newbcast:12 row_mask:0xf bank_mask:0xf// 0000000063F8: 0BC9C8FA FF015C0D
	v_mul_f32_dpp v229, v13, v229 row_newbcast:13 row_mask:0xf bank_mask:0xf// 000000006400: 0BCBCAFA FF015D0D
	v_mul_f32_dpp v230, v13, v230 row_newbcast:14 row_mask:0xf bank_mask:0xf// 000000006408: 0BCDCCFA FF015E0D
	v_mul_f32_dpp v231, v13, v231 row_newbcast:15 row_mask:0xf bank_mask:0xf// 000000006410: 0BCFCEFA FF015F0D
	v_mul_f32_e32 v228, v21, v228                              // 000000006418: 0BC9C915
	v_mul_f32_e32 v229, v21, v229                              // 00000000641C: 0BCBCB15
	v_mul_f32_e32 v230, v21, v230                              // 000000006420: 0BCDCD15
	v_mul_f32_e32 v231, v21, v231                              // 000000006424: 0BCFCF15
	v_cmp_u_f32_e64 s[48:49], v200, v200                       // 000000006428: D0480030 000391C8
	v_add3_u32 v43, v200, v46, 1                               // 000000006430: D1FF002B 02065DC8
	v_cndmask_b32_e64 v48, v43, v45, s[48:49]                  // 000000006438: D1000030 00C25B2B
	v_cmp_u_f32_e64 s[48:49], v201, v201                       // 000000006440: D0480030 000393C9
	v_add3_u32 v43, v201, v46, 1                               // 000000006448: D1FF002B 02065DC9
	v_cndmask_b32_e64 v49, v43, v45, s[48:49]                  // 000000006450: D1000031 00C25B2B
	v_perm_b32 v200, v49, v48, s52                             // 000000006458: D1ED00C8 00D26131
	v_cmp_u_f32_e64 s[48:49], v202, v202                       // 000000006460: D0480030 000395CA
	v_add3_u32 v43, v202, v46, 1                               // 000000006468: D1FF002B 02065DCA
	v_cndmask_b32_e64 v48, v43, v45, s[48:49]                  // 000000006470: D1000030 00C25B2B
	v_cmp_u_f32_e64 s[48:49], v203, v203                       // 000000006478: D0480030 000397CB
	v_add3_u32 v43, v203, v46, 1                               // 000000006480: D1FF002B 02065DCB
	v_cndmask_b32_e64 v49, v43, v45, s[48:49]                  // 000000006488: D1000031 00C25B2B
	v_perm_b32 v201, v49, v48, s52                             // 000000006490: D1ED00C9 00D26131
	v_cmp_u_f32_e64 s[48:49], v204, v204                       // 000000006498: D0480030 000399CC
	v_add3_u32 v43, v204, v46, 1                               // 0000000064A0: D1FF002B 02065DCC
	v_cndmask_b32_e64 v48, v43, v45, s[48:49]                  // 0000000064A8: D1000030 00C25B2B
	v_cmp_u_f32_e64 s[48:49], v205, v205                       // 0000000064B0: D0480030 00039BCD
	v_add3_u32 v43, v205, v46, 1                               // 0000000064B8: D1FF002B 02065DCD
	v_cndmask_b32_e64 v49, v43, v45, s[48:49]                  // 0000000064C0: D1000031 00C25B2B
	v_perm_b32 v202, v49, v48, s52                             // 0000000064C8: D1ED00CA 00D26131
	v_cmp_u_f32_e64 s[48:49], v206, v206                       // 0000000064D0: D0480030 00039DCE
	v_add3_u32 v43, v206, v46, 1                               // 0000000064D8: D1FF002B 02065DCE
	v_cndmask_b32_e64 v48, v43, v45, s[48:49]                  // 0000000064E0: D1000030 00C25B2B
	v_cmp_u_f32_e64 s[48:49], v207, v207                       // 0000000064E8: D0480030 00039FCF
	v_add3_u32 v43, v207, v46, 1                               // 0000000064F0: D1FF002B 02065DCF
	v_cndmask_b32_e64 v49, v43, v45, s[48:49]                  // 0000000064F8: D1000031 00C25B2B
	v_perm_b32 v203, v49, v48, s52                             // 000000006500: D1ED00CB 00D26131
	v_cmp_u_f32_e64 s[48:49], v208, v208                       // 000000006508: D0480030 0003A1D0
	v_add3_u32 v43, v208, v46, 1                               // 000000006510: D1FF002B 02065DD0
	v_cndmask_b32_e64 v48, v43, v45, s[48:49]                  // 000000006518: D1000030 00C25B2B
	v_cmp_u_f32_e64 s[48:49], v209, v209                       // 000000006520: D0480030 0003A3D1
	v_add3_u32 v43, v209, v46, 1                               // 000000006528: D1FF002B 02065DD1
	v_cndmask_b32_e64 v49, v43, v45, s[48:49]                  // 000000006530: D1000031 00C25B2B
	v_perm_b32 v204, v49, v48, s52                             // 000000006538: D1ED00CC 00D26131
	v_cmp_u_f32_e64 s[48:49], v210, v210                       // 000000006540: D0480030 0003A5D2
	v_add3_u32 v43, v210, v46, 1                               // 000000006548: D1FF002B 02065DD2
	v_cndmask_b32_e64 v48, v43, v45, s[48:49]                  // 000000006550: D1000030 00C25B2B
	v_cmp_u_f32_e64 s[48:49], v211, v211                       // 000000006558: D0480030 0003A7D3
	v_add3_u32 v43, v211, v46, 1                               // 000000006560: D1FF002B 02065DD3
	v_cndmask_b32_e64 v49, v43, v45, s[48:49]                  // 000000006568: D1000031 00C25B2B
	v_perm_b32 v205, v49, v48, s52                             // 000000006570: D1ED00CD 00D26131
	v_cmp_u_f32_e64 s[48:49], v212, v212                       // 000000006578: D0480030 0003A9D4
	v_add3_u32 v43, v212, v46, 1                               // 000000006580: D1FF002B 02065DD4
	v_cndmask_b32_e64 v48, v43, v45, s[48:49]                  // 000000006588: D1000030 00C25B2B
	v_cmp_u_f32_e64 s[48:49], v213, v213                       // 000000006590: D0480030 0003ABD5
	v_add3_u32 v43, v213, v46, 1                               // 000000006598: D1FF002B 02065DD5
	v_cndmask_b32_e64 v49, v43, v45, s[48:49]                  // 0000000065A0: D1000031 00C25B2B
	v_perm_b32 v206, v49, v48, s52                             // 0000000065A8: D1ED00CE 00D26131
	v_cmp_u_f32_e64 s[48:49], v214, v214                       // 0000000065B0: D0480030 0003ADD6
	v_add3_u32 v43, v214, v46, 1                               // 0000000065B8: D1FF002B 02065DD6
	v_cndmask_b32_e64 v48, v43, v45, s[48:49]                  // 0000000065C0: D1000030 00C25B2B
	v_cmp_u_f32_e64 s[48:49], v215, v215                       // 0000000065C8: D0480030 0003AFD7
	v_add3_u32 v43, v215, v46, 1                               // 0000000065D0: D1FF002B 02065DD7
	v_cndmask_b32_e64 v49, v43, v45, s[48:49]                  // 0000000065D8: D1000031 00C25B2B
	v_perm_b32 v207, v49, v48, s52                             // 0000000065E0: D1ED00CF 00D26131
	v_cmp_u_f32_e64 s[48:49], v216, v216                       // 0000000065E8: D0480030 0003B1D8
	v_add3_u32 v43, v216, v46, 1                               // 0000000065F0: D1FF002B 02065DD8
	v_cndmask_b32_e64 v48, v43, v45, s[48:49]                  // 0000000065F8: D1000030 00C25B2B
	v_cmp_u_f32_e64 s[48:49], v217, v217                       // 000000006600: D0480030 0003B3D9
	v_add3_u32 v43, v217, v46, 1                               // 000000006608: D1FF002B 02065DD9
	v_cndmask_b32_e64 v49, v43, v45, s[48:49]                  // 000000006610: D1000031 00C25B2B
	v_perm_b32 v208, v49, v48, s52                             // 000000006618: D1ED00D0 00D26131
	v_cmp_u_f32_e64 s[48:49], v218, v218                       // 000000006620: D0480030 0003B5DA
	v_add3_u32 v43, v218, v46, 1                               // 000000006628: D1FF002B 02065DDA
	v_cndmask_b32_e64 v48, v43, v45, s[48:49]                  // 000000006630: D1000030 00C25B2B
	v_cmp_u_f32_e64 s[48:49], v219, v219                       // 000000006638: D0480030 0003B7DB
	v_add3_u32 v43, v219, v46, 1                               // 000000006640: D1FF002B 02065DDB
	v_cndmask_b32_e64 v49, v43, v45, s[48:49]                  // 000000006648: D1000031 00C25B2B
	v_perm_b32 v209, v49, v48, s52                             // 000000006650: D1ED00D1 00D26131
	v_cmp_u_f32_e64 s[48:49], v220, v220                       // 000000006658: D0480030 0003B9DC
	v_add3_u32 v43, v220, v46, 1                               // 000000006660: D1FF002B 02065DDC
	v_cndmask_b32_e64 v48, v43, v45, s[48:49]                  // 000000006668: D1000030 00C25B2B
	v_cmp_u_f32_e64 s[48:49], v221, v221                       // 000000006670: D0480030 0003BBDD
	v_add3_u32 v43, v221, v46, 1                               // 000000006678: D1FF002B 02065DDD
	v_cndmask_b32_e64 v49, v43, v45, s[48:49]                  // 000000006680: D1000031 00C25B2B
	v_perm_b32 v210, v49, v48, s52                             // 000000006688: D1ED00D2 00D26131
	v_cmp_u_f32_e64 s[48:49], v222, v222                       // 000000006690: D0480030 0003BDDE
	v_add3_u32 v43, v222, v46, 1                               // 000000006698: D1FF002B 02065DDE
	v_cndmask_b32_e64 v48, v43, v45, s[48:49]                  // 0000000066A0: D1000030 00C25B2B
	v_cmp_u_f32_e64 s[48:49], v223, v223                       // 0000000066A8: D0480030 0003BFDF
	v_add3_u32 v43, v223, v46, 1                               // 0000000066B0: D1FF002B 02065DDF
	v_cndmask_b32_e64 v49, v43, v45, s[48:49]                  // 0000000066B8: D1000031 00C25B2B
	v_perm_b32 v211, v49, v48, s52                             // 0000000066C0: D1ED00D3 00D26131
	v_cmp_u_f32_e64 s[48:49], v224, v224                       // 0000000066C8: D0480030 0003C1E0
	v_add3_u32 v43, v224, v46, 1                               // 0000000066D0: D1FF002B 02065DE0
	v_cndmask_b32_e64 v48, v43, v45, s[48:49]                  // 0000000066D8: D1000030 00C25B2B
	v_cmp_u_f32_e64 s[48:49], v225, v225                       // 0000000066E0: D0480030 0003C3E1
	v_add3_u32 v43, v225, v46, 1                               // 0000000066E8: D1FF002B 02065DE1
	v_cndmask_b32_e64 v49, v43, v45, s[48:49]                  // 0000000066F0: D1000031 00C25B2B
	v_perm_b32 v212, v49, v48, s52                             // 0000000066F8: D1ED00D4 00D26131
	v_cmp_u_f32_e64 s[48:49], v226, v226                       // 000000006700: D0480030 0003C5E2
	v_add3_u32 v43, v226, v46, 1                               // 000000006708: D1FF002B 02065DE2
	v_cndmask_b32_e64 v48, v43, v45, s[48:49]                  // 000000006710: D1000030 00C25B2B
	v_cmp_u_f32_e64 s[48:49], v227, v227                       // 000000006718: D0480030 0003C7E3
	v_add3_u32 v43, v227, v46, 1                               // 000000006720: D1FF002B 02065DE3
	v_cndmask_b32_e64 v49, v43, v45, s[48:49]                  // 000000006728: D1000031 00C25B2B
	v_perm_b32 v213, v49, v48, s52                             // 000000006730: D1ED00D5 00D26131
	v_cmp_u_f32_e64 s[48:49], v228, v228                       // 000000006738: D0480030 0003C9E4
	v_add3_u32 v43, v228, v46, 1                               // 000000006740: D1FF002B 02065DE4
	v_cndmask_b32_e64 v48, v43, v45, s[48:49]                  // 000000006748: D1000030 00C25B2B
	v_cmp_u_f32_e64 s[48:49], v229, v229                       // 000000006750: D0480030 0003CBE5
	v_add3_u32 v43, v229, v46, 1                               // 000000006758: D1FF002B 02065DE5
	v_cndmask_b32_e64 v49, v43, v45, s[48:49]                  // 000000006760: D1000031 00C25B2B
	v_perm_b32 v214, v49, v48, s52                             // 000000006768: D1ED00D6 00D26131
	v_cmp_u_f32_e64 s[48:49], v230, v230                       // 000000006770: D0480030 0003CDE6
	v_add3_u32 v43, v230, v46, 1                               // 000000006778: D1FF002B 02065DE6
	v_cndmask_b32_e64 v48, v43, v45, s[48:49]                  // 000000006780: D1000030 00C25B2B
	v_cmp_u_f32_e64 s[48:49], v231, v231                       // 000000006788: D0480030 0003CFE7
	v_add3_u32 v43, v231, v46, 1                               // 000000006790: D1FF002B 02065DE7
	v_cndmask_b32_e64 v49, v43, v45, s[48:49]                  // 000000006798: D1000031 00C25B2B
	v_perm_b32 v215, v49, v48, s52                             // 0000000067A0: D1ED00D7 00D26131
	ds_write_b64 v3, v[200:201] offset:28928                   // 0000000067A8: D89A7100 0000C803
	ds_write_b64 v3, v[202:203] offset:37632                   // 0000000067B0: D89A9300 0000CA03
	ds_write_b64 v3, v[204:205] offset:31104                   // 0000000067B8: D89A7980 0000CC03
	ds_write_b64 v3, v[206:207] offset:39808                   // 0000000067C0: D89A9B80 0000CE03
	ds_write_b64 v3, v[208:209] offset:33280                   // 0000000067C8: D89A8200 0000D003
	ds_write_b64 v3, v[210:211] offset:41984                   // 0000000067D0: D89AA400 0000D203
	ds_write_b64 v3, v[212:213] offset:35456                   // 0000000067D8: D89A8A80 0000D403
	ds_write_b64 v3, v[214:215] offset:44160                   // 0000000067E0: D89AAC80 0000D603
	s_waitcnt lgkmcnt(0)                                       // 0000000067E8: BF8CC07F
	s_barrier                                                  // 0000000067EC: BF8A0000
	ds_read_b32 v64, v4 offset:28928                           // 0000000067F0: D86C7100 40000004
	ds_read_b32 v65, v4 offset:33280                           // 0000000067F8: D86C8200 41000004
	ds_read_b32 v66, v4 offset:28960                           // 000000006800: D86C7120 42000004
	ds_read_b32 v67, v4 offset:33312                           // 000000006808: D86C8220 43000004
	ds_read_b32 v68, v4 offset:28992                           // 000000006810: D86C7140 44000004
	ds_read_b32 v69, v4 offset:33344                           // 000000006818: D86C8240 45000004
	ds_read_b32 v70, v4 offset:29024                           // 000000006820: D86C7160 46000004
	ds_read_b32 v71, v4 offset:33376                           // 000000006828: D86C8260 47000004
	ds_read_b32 v72, v4 offset:37632                           // 000000006830: D86C9300 48000004
	ds_read_b32 v73, v4 offset:41984                           // 000000006838: D86CA400 49000004
	ds_read_b32 v74, v4 offset:37664                           // 000000006840: D86C9320 4A000004
	ds_read_b32 v75, v4 offset:42016                           // 000000006848: D86CA420 4B000004
	ds_read_b32 v76, v4 offset:37696                           // 000000006850: D86C9340 4C000004
	ds_read_b32 v77, v4 offset:42048                           // 000000006858: D86CA440 4D000004
	ds_read_b32 v78, v4 offset:37728                           // 000000006860: D86C9360 4E000004
	ds_read_b32 v79, v4 offset:42080                           // 000000006868: D86CA460 4F000004
	s_waitcnt lgkmcnt(0)                                       // 000000006870: BF8CC07F
	s_mov_b64 exec, s[20:21]                                   // 000000006874: BEFE0114
	global_atomic_pk_add_bf16 v80, v64, s[8:9]                 // 000000006878: DD488000 00084050
	s_mov_b64 exec, s[36:37]                                   // 000000006880: BEFE0124
	s_mov_b64 exec, s[20:21]                                   // 000000006884: BEFE0114
	global_atomic_pk_add_bf16 v80, v65, s[8:9] offset:256      // 000000006888: DD488100 00084150
	s_mov_b64 exec, s[36:37]                                   // 000000006890: BEFE0124
	s_mov_b64 exec, s[22:23]                                   // 000000006894: BEFE0116
	global_atomic_pk_add_bf16 v82, v66, s[8:9]                 // 000000006898: DD488000 00084252
	s_mov_b64 exec, s[36:37]                                   // 0000000068A0: BEFE0124
	s_mov_b64 exec, s[22:23]                                   // 0000000068A4: BEFE0116
	global_atomic_pk_add_bf16 v82, v67, s[8:9] offset:256      // 0000000068A8: DD488100 00084352
	s_mov_b64 exec, s[36:37]                                   // 0000000068B0: BEFE0124
	s_mov_b64 exec, s[24:25]                                   // 0000000068B4: BEFE0118
	global_atomic_pk_add_bf16 v84, v68, s[8:9]                 // 0000000068B8: DD488000 00084454
	s_mov_b64 exec, s[36:37]                                   // 0000000068C0: BEFE0124
	s_mov_b64 exec, s[24:25]                                   // 0000000068C4: BEFE0118
	global_atomic_pk_add_bf16 v84, v69, s[8:9] offset:256      // 0000000068C8: DD488100 00084554
	s_mov_b64 exec, s[36:37]                                   // 0000000068D0: BEFE0124
	s_mov_b64 exec, s[26:27]                                   // 0000000068D4: BEFE011A
	global_atomic_pk_add_bf16 v86, v70, s[8:9]                 // 0000000068D8: DD488000 00084656
	s_mov_b64 exec, s[36:37]                                   // 0000000068E0: BEFE0124
	s_mov_b64 exec, s[26:27]                                   // 0000000068E4: BEFE011A
	global_atomic_pk_add_bf16 v86, v71, s[8:9] offset:256      // 0000000068E8: DD488100 00084756
	s_mov_b64 exec, s[36:37]                                   // 0000000068F0: BEFE0124
	s_mov_b64 exec, s[28:29]                                   // 0000000068F4: BEFE011C
	global_atomic_pk_add_bf16 v88, v72, s[8:9]                 // 0000000068F8: DD488000 00084858
	s_mov_b64 exec, s[36:37]                                   // 000000006900: BEFE0124
	s_mov_b64 exec, s[28:29]                                   // 000000006904: BEFE011C
	global_atomic_pk_add_bf16 v88, v73, s[8:9] offset:256      // 000000006908: DD488100 00084958
	s_mov_b64 exec, s[36:37]                                   // 000000006910: BEFE0124
	s_mov_b64 exec, s[30:31]                                   // 000000006914: BEFE011E
	global_atomic_pk_add_bf16 v90, v74, s[8:9]                 // 000000006918: DD488000 00084A5A
	s_mov_b64 exec, s[36:37]                                   // 000000006920: BEFE0124
	s_mov_b64 exec, s[30:31]                                   // 000000006924: BEFE011E
	global_atomic_pk_add_bf16 v90, v75, s[8:9] offset:256      // 000000006928: DD488100 00084B5A
	s_mov_b64 exec, s[36:37]                                   // 000000006930: BEFE0124
	s_mov_b64 exec, s[32:33]                                   // 000000006934: BEFE0120
	global_atomic_pk_add_bf16 v92, v76, s[8:9]                 // 000000006938: DD488000 00084C5C
	s_mov_b64 exec, s[36:37]                                   // 000000006940: BEFE0124
	s_mov_b64 exec, s[32:33]                                   // 000000006944: BEFE0120
	global_atomic_pk_add_bf16 v92, v77, s[8:9] offset:256      // 000000006948: DD488100 00084D5C
	s_mov_b64 exec, s[36:37]                                   // 000000006950: BEFE0124
	s_mov_b64 exec, s[34:35]                                   // 000000006954: BEFE0122
	global_atomic_pk_add_bf16 v94, v78, s[8:9]                 // 000000006958: DD488000 00084E5E
	s_mov_b64 exec, s[36:37]                                   // 000000006960: BEFE0124
	s_mov_b64 exec, s[34:35]                                   // 000000006964: BEFE0122
	global_atomic_pk_add_bf16 v94, v79, s[8:9] offset:256      // 000000006968: DD488100 00084F5E
	s_mov_b64 exec, s[36:37]                                   // 000000006970: BEFE0124
	s_add_u32 s8, s59, s8                                      // 000000006974: 8008083B
	s_addc_u32 s9, 0, s9                                       // 000000006978: 82090980
	s_addk_i32 s80, 0x100                                      // 00000000697C: B7500100
	s_cmp_lt_i32 s80, s81                                      // 000000006980: BF045150
	s_cbranch_scc0 label_0EE3                                  // 000000006984: BF840001
	s_branch label_092E                                        // 000000006988: BF82FA4B

000000000000698c <label_0EE3>:
	s_nop 0                                                    // 00000000698C: BF800000
	s_nop 0                                                    // 000000006990: BF800000
	s_branch label_1B06                                        // 000000006994: BF820C20

0000000000006998 <label_0EE6>:
	s_waitcnt vmcnt(12) lgkmcnt(0)                             // 000000006998: BF8C007C
	s_barrier                                                  // 00000000699C: BF8A0000
	v_mfma_i32_16x16x32_i8 v[128:131], a[0:1], v[168:169], v[128:131]// 0000000069A0: D3D70080 0E035100
	buffer_load_dwordx4 a[80:83], v34, s[24:27], 0 offen       // 0000000069A8: E05C1000 80865022
	v_mfma_i32_16x16x32_i8 v[128:131], a[2:3], v[170:171], v[128:131]// 0000000069B0: D3D70080 0E035502
	v_mfma_i32_16x16x32_i8 v[128:131], a[4:5], v[172:173], v[128:131]// 0000000069B8: D3D70080 0E035904
	buffer_load_dword v26, s[20:23], 0 offen lds               // 0000000069C0: E0511000 8005001A
	s_add_u32 m0, 0x100, s50                                   // 0000000069C8: 807C32FF 00000100
	v_mfma_i32_16x16x32_i8 v[128:131], a[6:7], v[174:175], v[128:131]// 0000000069D0: D3D70080 0E035D06
	v_mfma_i32_16x16x32_i8 v[128:131], a[8:9], v[176:177], v[128:131]// 0000000069D8: D3D70080 0E036108
	buffer_load_dwordx4 a[84:87], v34, s[24:27], 0 offen offset:1024// 0000000069E0: E05C1400 80865422
	v_mfma_i32_16x16x32_i8 v[128:131], a[10:11], v[178:179], v[128:131]// 0000000069E8: D3D70080 0E03650A
	v_mfma_i32_16x16x32_i8 v[128:131], a[12:13], v[180:181], v[128:131]// 0000000069F0: D3D70080 0E03690C
	buffer_load_dword v27, s[20:23], 0 offen lds               // 0000000069F8: E0511000 8005001B
	s_add_u32 m0, 0x200, s50                                   // 000000006A00: 807C32FF 00000200
	v_mfma_i32_16x16x32_i8 v[128:131], a[14:15], v[182:183], v[128:131]// 000000006A08: D3D70080 0E036D0E
	v_mfma_i32_16x16x32_i8 v[132:135], a[0:1], v[184:185], v[132:135]// 000000006A10: D3D70084 0E137100
	buffer_load_dwordx4 a[88:91], v34, s[24:27], 0 offen offset:2048// 000000006A18: E05C1800 80865822
	v_mfma_i32_16x16x32_i8 v[132:135], a[2:3], v[186:187], v[132:135]// 000000006A20: D3D70084 0E137502
	v_mfma_i32_16x16x32_i8 v[132:135], a[4:5], v[188:189], v[132:135]// 000000006A28: D3D70084 0E137904
	buffer_load_dword v28, s[20:23], 0 offen lds               // 000000006A30: E0511000 8005001C
	s_add_u32 m0, 0x300, s50                                   // 000000006A38: 807C32FF 00000300
	v_mfma_i32_16x16x32_i8 v[132:135], a[6:7], v[190:191], v[132:135]// 000000006A40: D3D70084 0E137D06
	v_mfma_i32_16x16x32_i8 v[132:135], a[8:9], v[192:193], v[132:135]// 000000006A48: D3D70084 0E138108
	buffer_load_dwordx4 a[92:95], v34, s[24:27], 0 offen offset:3072// 000000006A50: E05C1C00 80865C22
	v_mfma_i32_16x16x32_i8 v[132:135], a[10:11], v[194:195], v[132:135]// 000000006A58: D3D70084 0E13850A
	v_mfma_i32_16x16x32_i8 v[132:135], a[12:13], v[196:197], v[132:135]// 000000006A60: D3D70084 0E13890C
	buffer_load_dword v29, s[20:23], 0 offen lds               // 000000006A68: E0511000 8005001D
	s_add_u32 m0, 0x400, s50                                   // 000000006A70: 807C32FF 00000400
	v_mfma_i32_16x16x32_i8 v[132:135], a[14:15], v[198:199], v[132:135]// 000000006A78: D3D70084 0E138D0E
	v_mfma_i32_16x16x32_i8 v[136:139], a[16:17], v[168:169], v[136:139]// 000000006A80: D3D70088 0E235110
	buffer_load_dwordx4 a[96:99], v35, s[24:27], 0 offen       // 000000006A88: E05C1000 80866023
	v_mfma_i32_16x16x32_i8 v[136:139], a[18:19], v[170:171], v[136:139]// 000000006A90: D3D70088 0E235512
	v_mfma_i32_16x16x32_i8 v[136:139], a[20:21], v[172:173], v[136:139]// 000000006A98: D3D70088 0E235914
	buffer_load_dword v30, s[20:23], 0 offen lds               // 000000006AA0: E0511000 8005001E
	s_add_u32 m0, 0x500, s50                                   // 000000006AA8: 807C32FF 00000500
	v_mfma_i32_16x16x32_i8 v[136:139], a[22:23], v[174:175], v[136:139]// 000000006AB0: D3D70088 0E235D16
	v_mfma_i32_16x16x32_i8 v[136:139], a[24:25], v[176:177], v[136:139]// 000000006AB8: D3D70088 0E236118
	buffer_load_dwordx4 a[100:103], v35, s[24:27], 0 offen offset:1024// 000000006AC0: E05C1400 80866423
	v_mfma_i32_16x16x32_i8 v[136:139], a[26:27], v[178:179], v[136:139]// 000000006AC8: D3D70088 0E23651A
	v_mfma_i32_16x16x32_i8 v[136:139], a[28:29], v[180:181], v[136:139]// 000000006AD0: D3D70088 0E23691C
	buffer_load_dword v31, s[20:23], 0 offen lds               // 000000006AD8: E0511000 8005001F
	s_add_u32 m0, 0x600, s50                                   // 000000006AE0: 807C32FF 00000600
	v_mfma_i32_16x16x32_i8 v[136:139], a[30:31], v[182:183], v[136:139]// 000000006AE8: D3D70088 0E236D1E
	v_mfma_i32_16x16x32_i8 v[140:143], a[16:17], v[184:185], v[140:143]// 000000006AF0: D3D7008C 0E337110
	buffer_load_dwordx4 a[104:107], v35, s[24:27], 0 offen offset:2048// 000000006AF8: E05C1800 80866823
	v_mfma_i32_16x16x32_i8 v[140:143], a[18:19], v[186:187], v[140:143]// 000000006B00: D3D7008C 0E337512
	v_mfma_i32_16x16x32_i8 v[140:143], a[20:21], v[188:189], v[140:143]// 000000006B08: D3D7008C 0E337914
	buffer_load_dword v32, s[20:23], 0 offen lds               // 000000006B10: E0511000 80050020
	s_add_u32 m0, 0x700, s50                                   // 000000006B18: 807C32FF 00000700
	v_mfma_i32_16x16x32_i8 v[140:143], a[22:23], v[190:191], v[140:143]// 000000006B20: D3D7008C 0E337D16
	v_mfma_i32_16x16x32_i8 v[140:143], a[24:25], v[192:193], v[140:143]// 000000006B28: D3D7008C 0E338118
	buffer_load_dwordx4 a[108:111], v35, s[24:27], 0 offen offset:3072// 000000006B30: E05C1C00 80866C23
	v_mfma_i32_16x16x32_i8 v[140:143], a[26:27], v[194:195], v[140:143]// 000000006B38: D3D7008C 0E33851A
	v_mfma_i32_16x16x32_i8 v[140:143], a[28:29], v[196:197], v[140:143]// 000000006B40: D3D7008C 0E33891C
	buffer_load_dword v33, s[20:23], 0 offen lds               // 000000006B48: E0511000 80050021
	s_add_u32 m0, 0, s51                                       // 000000006B50: 807C3380
	v_mfma_i32_16x16x32_i8 v[140:143], a[30:31], v[198:199], v[140:143]// 000000006B54: D3D7008C 0E338D1E
	s_waitcnt vmcnt(24)                                        // 000000006B5C: BF8C4F78
	v_mfma_i32_16x16x32_i8 v[144:147], a[32:33], v[168:169], v[144:147]// 000000006B60: D3D70090 0E435120
	buffer_load_dwordx4 a[112:115], v36, s[24:27], 0 offen     // 000000006B68: E05C1000 80867024
	v_mfma_i32_16x16x32_i8 v[144:147], a[34:35], v[170:171], v[144:147]// 000000006B70: D3D70090 0E435522
	v_mfma_i32_16x16x32_i8 v[144:147], a[36:37], v[172:173], v[144:147]// 000000006B78: D3D70090 0E435924
	ds_read_b128 v[200:203], v2 offset:8320                    // 000000006B80: D9FE2080 C8000002
	v_mfma_i32_16x16x32_i8 v[144:147], a[38:39], v[174:175], v[144:147]// 000000006B88: D3D70090 0E435D26
	v_mfma_i32_16x16x32_i8 v[144:147], a[40:41], v[176:177], v[144:147]// 000000006B90: D3D70090 0E436128
	buffer_load_dwordx4 a[116:119], v36, s[24:27], 0 offen offset:1024// 000000006B98: E05C1400 80867424
	v_mfma_i32_16x16x32_i8 v[144:147], a[42:43], v[178:179], v[144:147]// 000000006BA0: D3D70090 0E43652A
	v_mfma_i32_16x16x32_i8 v[144:147], a[44:45], v[180:181], v[144:147]// 000000006BA8: D3D70090 0E43692C
	ds_read_b128 v[204:207], v2 offset:8384                    // 000000006BB0: D9FE20C0 CC000002
	v_mfma_i32_16x16x32_i8 v[144:147], a[46:47], v[182:183], v[144:147]// 000000006BB8: D3D70090 0E436D2E
	v_mfma_i32_16x16x32_i8 v[148:151], a[32:33], v[184:185], v[148:151]// 000000006BC0: D3D70094 0E537120
	buffer_load_dwordx4 a[120:123], v36, s[24:27], 0 offen offset:2048// 000000006BC8: E05C1800 80867824
	v_mfma_i32_16x16x32_i8 v[148:151], a[34:35], v[186:187], v[148:151]// 000000006BD0: D3D70094 0E537522
	v_mfma_i32_16x16x32_i8 v[148:151], a[36:37], v[188:189], v[148:151]// 000000006BD8: D3D70094 0E537924
	ds_read_b128 v[208:211], v2 offset:8448                    // 000000006BE0: D9FE2100 D0000002
	v_mfma_i32_16x16x32_i8 v[148:151], a[38:39], v[190:191], v[148:151]// 000000006BE8: D3D70094 0E537D26
	v_mfma_i32_16x16x32_i8 v[148:151], a[40:41], v[192:193], v[148:151]// 000000006BF0: D3D70094 0E538128
	buffer_load_dwordx4 a[124:127], v36, s[24:27], 0 offen offset:3072// 000000006BF8: E05C1C00 80867C24
	v_mfma_i32_16x16x32_i8 v[148:151], a[42:43], v[194:195], v[148:151]// 000000006C00: D3D70094 0E53852A
	v_mfma_i32_16x16x32_i8 v[148:151], a[44:45], v[196:197], v[148:151]// 000000006C08: D3D70094 0E53892C
	ds_read_b128 v[212:215], v2 offset:8512                    // 000000006C10: D9FE2140 D4000002
	v_mfma_i32_16x16x32_i8 v[148:151], a[46:47], v[198:199], v[148:151]// 000000006C18: D3D70094 0E538D2E
	s_waitcnt vmcnt(24)                                        // 000000006C20: BF8C4F78
	v_mfma_i32_16x16x32_i8 v[152:155], a[48:49], v[168:169], v[152:155]// 000000006C24: D3D70098 0E635130
	buffer_load_dwordx4 a[128:131], v37, s[24:27], 0 offen     // 000000006C2C: E05C1000 80868025
	v_mfma_i32_16x16x32_i8 v[152:155], a[50:51], v[170:171], v[152:155]// 000000006C34: D3D70098 0E635532
	v_mfma_i32_16x16x32_i8 v[152:155], a[52:53], v[172:173], v[152:155]// 000000006C3C: D3D70098 0E635934
	ds_read_b128 v[216:219], v2 offset:9344                    // 000000006C44: D9FE2480 D8000002
	v_mfma_i32_16x16x32_i8 v[152:155], a[54:55], v[174:175], v[152:155]// 000000006C4C: D3D70098 0E635D36
	v_mfma_i32_16x16x32_i8 v[152:155], a[56:57], v[176:177], v[152:155]// 000000006C54: D3D70098 0E636138
	buffer_load_dwordx4 a[132:135], v37, s[24:27], 0 offen offset:1024// 000000006C5C: E05C1400 80868425
	v_mfma_i32_16x16x32_i8 v[152:155], a[58:59], v[178:179], v[152:155]// 000000006C64: D3D70098 0E63653A
	v_mfma_i32_16x16x32_i8 v[152:155], a[60:61], v[180:181], v[152:155]// 000000006C6C: D3D70098 0E63693C
	ds_read_b128 v[220:223], v2 offset:9408                    // 000000006C74: D9FE24C0 DC000002
	v_mfma_i32_16x16x32_i8 v[152:155], a[62:63], v[182:183], v[152:155]// 000000006C7C: D3D70098 0E636D3E
	v_mfma_i32_16x16x32_i8 v[156:159], a[48:49], v[184:185], v[156:159]// 000000006C84: D3D7009C 0E737130
	buffer_load_dwordx4 a[136:139], v37, s[24:27], 0 offen offset:2048// 000000006C8C: E05C1800 80868825
	v_mfma_i32_16x16x32_i8 v[156:159], a[50:51], v[186:187], v[156:159]// 000000006C94: D3D7009C 0E737532
	v_mfma_i32_16x16x32_i8 v[156:159], a[52:53], v[188:189], v[156:159]// 000000006C9C: D3D7009C 0E737934
	ds_read_b128 v[224:227], v2 offset:9472                    // 000000006CA4: D9FE2500 E0000002
	v_mfma_i32_16x16x32_i8 v[156:159], a[54:55], v[190:191], v[156:159]// 000000006CAC: D3D7009C 0E737D36
	v_mfma_i32_16x16x32_i8 v[156:159], a[56:57], v[192:193], v[156:159]// 000000006CB4: D3D7009C 0E738138
	buffer_load_dwordx4 a[140:143], v37, s[24:27], 0 offen offset:3072// 000000006CBC: E05C1C00 80868C25
	v_mfma_i32_16x16x32_i8 v[156:159], a[58:59], v[194:195], v[156:159]// 000000006CC4: D3D7009C 0E73853A
	v_mfma_i32_16x16x32_i8 v[156:159], a[60:61], v[196:197], v[156:159]// 000000006CCC: D3D7009C 0E73893C
	ds_read_b128 v[228:231], v2 offset:9536                    // 000000006CD4: D9FE2540 E4000002
	v_mfma_i32_16x16x32_i8 v[156:159], a[62:63], v[198:199], v[156:159]// 000000006CDC: D3D7009C 0E738D3E
	s_waitcnt vmcnt(24)                                        // 000000006CE4: BF8C4F78
	v_mfma_i32_16x16x32_i8 v[160:163], a[64:65], v[168:169], v[160:163]// 000000006CE8: D3D700A0 0E835140
	buffer_load_dwordx4 a[144:147], v38, s[24:27], 0 offen     // 000000006CF0: E05C1000 80869026
	v_mfma_i32_16x16x32_i8 v[160:163], a[66:67], v[170:171], v[160:163]// 000000006CF8: D3D700A0 0E835542
	v_mfma_i32_16x16x32_i8 v[160:163], a[68:69], v[172:173], v[160:163]// 000000006D00: D3D700A0 0E835944
	v_mfma_i32_16x16x32_i8 v[160:163], a[70:71], v[174:175], v[160:163]// 000000006D08: D3D700A0 0E835D46
	v_mfma_i32_16x16x32_i8 v[160:163], a[72:73], v[176:177], v[160:163]// 000000006D10: D3D700A0 0E836148
	buffer_load_dwordx4 a[148:151], v38, s[24:27], 0 offen offset:1024// 000000006D18: E05C1400 80869426
	v_mfma_i32_16x16x32_i8 v[160:163], a[74:75], v[178:179], v[160:163]// 000000006D20: D3D700A0 0E83654A
	v_mfma_i32_16x16x32_i8 v[160:163], a[76:77], v[180:181], v[160:163]// 000000006D28: D3D700A0 0E83694C
	v_mfma_i32_16x16x32_i8 v[160:163], a[78:79], v[182:183], v[160:163]// 000000006D30: D3D700A0 0E836D4E
	v_mfma_i32_16x16x32_i8 v[164:167], a[64:65], v[184:185], v[164:167]// 000000006D38: D3D700A4 0E937140
	buffer_load_dwordx4 a[152:155], v38, s[24:27], 0 offen offset:2048// 000000006D40: E05C1800 80869826
	v_mfma_i32_16x16x32_i8 v[164:167], a[66:67], v[186:187], v[164:167]// 000000006D48: D3D700A4 0E937542
	v_mfma_i32_16x16x32_i8 v[164:167], a[68:69], v[188:189], v[164:167]// 000000006D50: D3D700A4 0E937944
	v_mfma_i32_16x16x32_i8 v[164:167], a[70:71], v[190:191], v[164:167]// 000000006D58: D3D700A4 0E937D46
	v_mfma_i32_16x16x32_i8 v[164:167], a[72:73], v[192:193], v[164:167]// 000000006D60: D3D700A4 0E938148
	buffer_load_dwordx4 a[156:159], v38, s[24:27], 0 offen offset:3072// 000000006D68: E05C1C00 80869C26
	v_mfma_i32_16x16x32_i8 v[164:167], a[74:75], v[194:195], v[164:167]// 000000006D70: D3D700A4 0E93854A
	v_mfma_i32_16x16x32_i8 v[164:167], a[76:77], v[196:197], v[164:167]// 000000006D78: D3D700A4 0E93894C
	v_mfma_i32_16x16x32_i8 v[164:167], a[78:79], v[198:199], v[164:167]// 000000006D80: D3D700A4 0E938D4E
	s_add_u32 s60, 0x300, s80                                  // 000000006D88: 803C50FF 00000300
	s_cmp_lt_u32 s60, s81                                      // 000000006D90: BF0A513C
	s_cselect_b32 s57, s57, 0                                  // 000000006D94: 85398039
	s_add_u32 s60, 0x200, s80                                  // 000000006D98: 803C50FF 00000200
	s_cmp_lt_u32 s60, s81                                      // 000000006DA0: BF0A513C
	s_cselect_b32 s58, s58, 0                                  // 000000006DA4: 853A803A
	s_add_u32 s20, s57, s20                                    // 000000006DA8: 80141439
	s_addc_u32 s21, 0, s21                                     // 000000006DAC: 82151580
	s_add_u32 s24, s58, s24                                    // 000000006DB0: 8018183A
	s_addc_u32 s25, 0, s25                                     // 000000006DB4: 82191980
	s_addk_i32 s80, 0x100                                      // 000000006DB8: B7500100
	s_cmp_lt_i32 s80, s81                                      // 000000006DBC: BF045150
	s_cbranch_scc0 label_10FD                                  // 000000006DC0: BF84010C
	s_waitcnt vmcnt(12) lgkmcnt(0)                             // 000000006DC4: BF8C007C
	s_barrier                                                  // 000000006DC8: BF8A0000
	v_mfma_i32_16x16x32_i8 v[128:131], a[80:81], v[200:201], v[128:131]// 000000006DCC: D3D70080 0E039150
	buffer_load_dwordx4 a[0:3], v34, s[24:27], 0 offen         // 000000006DD4: E05C1000 80860022
	v_mfma_i32_16x16x32_i8 v[128:131], a[82:83], v[202:203], v[128:131]// 000000006DDC: D3D70080 0E039552
	v_mfma_i32_16x16x32_i8 v[128:131], a[84:85], v[204:205], v[128:131]// 000000006DE4: D3D70080 0E039954
	buffer_load_dword v26, s[20:23], 0 offen lds               // 000000006DEC: E0511000 8005001A
	s_add_u32 m0, 0x100, s51                                   // 000000006DF4: 807C33FF 00000100
	v_mfma_i32_16x16x32_i8 v[128:131], a[86:87], v[206:207], v[128:131]// 000000006DFC: D3D70080 0E039D56
	v_mfma_i32_16x16x32_i8 v[128:131], a[88:89], v[208:209], v[128:131]// 000000006E04: D3D70080 0E03A158
	buffer_load_dwordx4 a[4:7], v34, s[24:27], 0 offen offset:1024// 000000006E0C: E05C1400 80860422
	v_mfma_i32_16x16x32_i8 v[128:131], a[90:91], v[210:211], v[128:131]// 000000006E14: D3D70080 0E03A55A
	v_mfma_i32_16x16x32_i8 v[128:131], a[92:93], v[212:213], v[128:131]// 000000006E1C: D3D70080 0E03A95C
	buffer_load_dword v27, s[20:23], 0 offen lds               // 000000006E24: E0511000 8005001B
	s_add_u32 m0, 0x200, s51                                   // 000000006E2C: 807C33FF 00000200
	v_mfma_i32_16x16x32_i8 v[128:131], a[94:95], v[214:215], v[128:131]// 000000006E34: D3D70080 0E03AD5E
	v_mfma_i32_16x16x32_i8 v[132:135], a[80:81], v[216:217], v[132:135]// 000000006E3C: D3D70084 0E13B150
	buffer_load_dwordx4 a[8:11], v34, s[24:27], 0 offen offset:2048// 000000006E44: E05C1800 80860822
	v_mfma_i32_16x16x32_i8 v[132:135], a[82:83], v[218:219], v[132:135]// 000000006E4C: D3D70084 0E13B552
	v_mfma_i32_16x16x32_i8 v[132:135], a[84:85], v[220:221], v[132:135]// 000000006E54: D3D70084 0E13B954
	buffer_load_dword v28, s[20:23], 0 offen lds               // 000000006E5C: E0511000 8005001C
	s_add_u32 m0, 0x300, s51                                   // 000000006E64: 807C33FF 00000300
	v_mfma_i32_16x16x32_i8 v[132:135], a[86:87], v[222:223], v[132:135]// 000000006E6C: D3D70084 0E13BD56
	v_mfma_i32_16x16x32_i8 v[132:135], a[88:89], v[224:225], v[132:135]// 000000006E74: D3D70084 0E13C158
	buffer_load_dwordx4 a[12:15], v34, s[24:27], 0 offen offset:3072// 000000006E7C: E05C1C00 80860C22
	v_mfma_i32_16x16x32_i8 v[132:135], a[90:91], v[226:227], v[132:135]// 000000006E84: D3D70084 0E13C55A
	v_mfma_i32_16x16x32_i8 v[132:135], a[92:93], v[228:229], v[132:135]// 000000006E8C: D3D70084 0E13C95C
	buffer_load_dword v29, s[20:23], 0 offen lds               // 000000006E94: E0511000 8005001D
	s_add_u32 m0, 0x400, s51                                   // 000000006E9C: 807C33FF 00000400
	v_mfma_i32_16x16x32_i8 v[132:135], a[94:95], v[230:231], v[132:135]// 000000006EA4: D3D70084 0E13CD5E
	v_mfma_i32_16x16x32_i8 v[136:139], a[96:97], v[200:201], v[136:139]// 000000006EAC: D3D70088 0E239160
	buffer_load_dwordx4 a[16:19], v35, s[24:27], 0 offen       // 000000006EB4: E05C1000 80861023
	v_mfma_i32_16x16x32_i8 v[136:139], a[98:99], v[202:203], v[136:139]// 000000006EBC: D3D70088 0E239562
	v_mfma_i32_16x16x32_i8 v[136:139], a[100:101], v[204:205], v[136:139]// 000000006EC4: D3D70088 0E239964
	buffer_load_dword v30, s[20:23], 0 offen lds               // 000000006ECC: E0511000 8005001E
	s_add_u32 m0, 0x500, s51                                   // 000000006ED4: 807C33FF 00000500
	v_mfma_i32_16x16x32_i8 v[136:139], a[102:103], v[206:207], v[136:139]// 000000006EDC: D3D70088 0E239D66
	v_mfma_i32_16x16x32_i8 v[136:139], a[104:105], v[208:209], v[136:139]// 000000006EE4: D3D70088 0E23A168
	buffer_load_dwordx4 a[20:23], v35, s[24:27], 0 offen offset:1024// 000000006EEC: E05C1400 80861423
	v_mfma_i32_16x16x32_i8 v[136:139], a[106:107], v[210:211], v[136:139]// 000000006EF4: D3D70088 0E23A56A
	v_mfma_i32_16x16x32_i8 v[136:139], a[108:109], v[212:213], v[136:139]// 000000006EFC: D3D70088 0E23A96C
	buffer_load_dword v31, s[20:23], 0 offen lds               // 000000006F04: E0511000 8005001F
	s_add_u32 m0, 0x600, s51                                   // 000000006F0C: 807C33FF 00000600
	v_mfma_i32_16x16x32_i8 v[136:139], a[110:111], v[214:215], v[136:139]// 000000006F14: D3D70088 0E23AD6E
	v_mfma_i32_16x16x32_i8 v[140:143], a[96:97], v[216:217], v[140:143]// 000000006F1C: D3D7008C 0E33B160
	buffer_load_dwordx4 a[24:27], v35, s[24:27], 0 offen offset:2048// 000000006F24: E05C1800 80861823
	v_mfma_i32_16x16x32_i8 v[140:143], a[98:99], v[218:219], v[140:143]// 000000006F2C: D3D7008C 0E33B562
	v_mfma_i32_16x16x32_i8 v[140:143], a[100:101], v[220:221], v[140:143]// 000000006F34: D3D7008C 0E33B964
	buffer_load_dword v32, s[20:23], 0 offen lds               // 000000006F3C: E0511000 80050020
	s_add_u32 m0, 0x700, s51                                   // 000000006F44: 807C33FF 00000700
	v_mfma_i32_16x16x32_i8 v[140:143], a[102:103], v[222:223], v[140:143]// 000000006F4C: D3D7008C 0E33BD66
	v_mfma_i32_16x16x32_i8 v[140:143], a[104:105], v[224:225], v[140:143]// 000000006F54: D3D7008C 0E33C168
	buffer_load_dwordx4 a[28:31], v35, s[24:27], 0 offen offset:3072// 000000006F5C: E05C1C00 80861C23
	v_mfma_i32_16x16x32_i8 v[140:143], a[106:107], v[226:227], v[140:143]// 000000006F64: D3D7008C 0E33C56A
	v_mfma_i32_16x16x32_i8 v[140:143], a[108:109], v[228:229], v[140:143]// 000000006F6C: D3D7008C 0E33C96C
	buffer_load_dword v33, s[20:23], 0 offen lds               // 000000006F74: E0511000 80050021
	s_add_u32 m0, 0, s50                                       // 000000006F7C: 807C3280
	v_mfma_i32_16x16x32_i8 v[140:143], a[110:111], v[230:231], v[140:143]// 000000006F80: D3D7008C 0E33CD6E
	s_waitcnt vmcnt(24)                                        // 000000006F88: BF8C4F78
	v_mfma_i32_16x16x32_i8 v[144:147], a[112:113], v[200:201], v[144:147]// 000000006F8C: D3D70090 0E439170
	buffer_load_dwordx4 a[32:35], v36, s[24:27], 0 offen       // 000000006F94: E05C1000 80862024
	v_mfma_i32_16x16x32_i8 v[144:147], a[114:115], v[202:203], v[144:147]// 000000006F9C: D3D70090 0E439572
	v_mfma_i32_16x16x32_i8 v[144:147], a[116:117], v[204:205], v[144:147]// 000000006FA4: D3D70090 0E439974
	ds_read_b128 v[168:171], v2                                // 000000006FAC: D9FE0000 A8000002
	v_mfma_i32_16x16x32_i8 v[144:147], a[118:119], v[206:207], v[144:147]// 000000006FB4: D3D70090 0E439D76
	v_mfma_i32_16x16x32_i8 v[144:147], a[120:121], v[208:209], v[144:147]// 000000006FBC: D3D70090 0E43A178
	buffer_load_dwordx4 a[36:39], v36, s[24:27], 0 offen offset:1024// 000000006FC4: E05C1400 80862424
	v_mfma_i32_16x16x32_i8 v[144:147], a[122:123], v[210:211], v[144:147]// 000000006FCC: D3D70090 0E43A57A
	v_mfma_i32_16x16x32_i8 v[144:147], a[124:125], v[212:213], v[144:147]// 000000006FD4: D3D70090 0E43A97C
	ds_read_b128 v[172:175], v2 offset:64                      // 000000006FDC: D9FE0040 AC000002
	v_mfma_i32_16x16x32_i8 v[144:147], a[126:127], v[214:215], v[144:147]// 000000006FE4: D3D70090 0E43AD7E
	v_mfma_i32_16x16x32_i8 v[148:151], a[112:113], v[216:217], v[148:151]// 000000006FEC: D3D70094 0E53B170
	buffer_load_dwordx4 a[40:43], v36, s[24:27], 0 offen offset:2048// 000000006FF4: E05C1800 80862824
	v_mfma_i32_16x16x32_i8 v[148:151], a[114:115], v[218:219], v[148:151]// 000000006FFC: D3D70094 0E53B572
	v_mfma_i32_16x16x32_i8 v[148:151], a[116:117], v[220:221], v[148:151]// 000000007004: D3D70094 0E53B974
	ds_read_b128 v[176:179], v2 offset:128                     // 00000000700C: D9FE0080 B0000002
	v_mfma_i32_16x16x32_i8 v[148:151], a[118:119], v[222:223], v[148:151]// 000000007014: D3D70094 0E53BD76
	v_mfma_i32_16x16x32_i8 v[148:151], a[120:121], v[224:225], v[148:151]// 00000000701C: D3D70094 0E53C178
	buffer_load_dwordx4 a[44:47], v36, s[24:27], 0 offen offset:3072// 000000007024: E05C1C00 80862C24
	v_mfma_i32_16x16x32_i8 v[148:151], a[122:123], v[226:227], v[148:151]// 00000000702C: D3D70094 0E53C57A
	v_mfma_i32_16x16x32_i8 v[148:151], a[124:125], v[228:229], v[148:151]// 000000007034: D3D70094 0E53C97C
	ds_read_b128 v[180:183], v2 offset:192                     // 00000000703C: D9FE00C0 B4000002
	v_mfma_i32_16x16x32_i8 v[148:151], a[126:127], v[230:231], v[148:151]// 000000007044: D3D70094 0E53CD7E
	s_waitcnt vmcnt(24)                                        // 00000000704C: BF8C4F78
	v_mfma_i32_16x16x32_i8 v[152:155], a[128:129], v[200:201], v[152:155]// 000000007050: D3D70098 0E639180
	buffer_load_dwordx4 a[48:51], v37, s[24:27], 0 offen       // 000000007058: E05C1000 80863025
	v_mfma_i32_16x16x32_i8 v[152:155], a[130:131], v[202:203], v[152:155]// 000000007060: D3D70098 0E639582
	v_mfma_i32_16x16x32_i8 v[152:155], a[132:133], v[204:205], v[152:155]// 000000007068: D3D70098 0E639984
	ds_read_b128 v[184:187], v2 offset:1024                    // 000000007070: D9FE0400 B8000002
	v_mfma_i32_16x16x32_i8 v[152:155], a[134:135], v[206:207], v[152:155]// 000000007078: D3D70098 0E639D86
	v_mfma_i32_16x16x32_i8 v[152:155], a[136:137], v[208:209], v[152:155]// 000000007080: D3D70098 0E63A188
	buffer_load_dwordx4 a[52:55], v37, s[24:27], 0 offen offset:1024// 000000007088: E05C1400 80863425
	v_mfma_i32_16x16x32_i8 v[152:155], a[138:139], v[210:211], v[152:155]// 000000007090: D3D70098 0E63A58A
	v_mfma_i32_16x16x32_i8 v[152:155], a[140:141], v[212:213], v[152:155]// 000000007098: D3D70098 0E63A98C
	ds_read_b128 v[188:191], v2 offset:1088                    // 0000000070A0: D9FE0440 BC000002
	v_mfma_i32_16x16x32_i8 v[152:155], a[142:143], v[214:215], v[152:155]// 0000000070A8: D3D70098 0E63AD8E
	v_mfma_i32_16x16x32_i8 v[156:159], a[128:129], v[216:217], v[156:159]// 0000000070B0: D3D7009C 0E73B180
	buffer_load_dwordx4 a[56:59], v37, s[24:27], 0 offen offset:2048// 0000000070B8: E05C1800 80863825
	v_mfma_i32_16x16x32_i8 v[156:159], a[130:131], v[218:219], v[156:159]// 0000000070C0: D3D7009C 0E73B582
	v_mfma_i32_16x16x32_i8 v[156:159], a[132:133], v[220:221], v[156:159]// 0000000070C8: D3D7009C 0E73B984
	ds_read_b128 v[192:195], v2 offset:1152                    // 0000000070D0: D9FE0480 C0000002
	v_mfma_i32_16x16x32_i8 v[156:159], a[134:135], v[222:223], v[156:159]// 0000000070D8: D3D7009C 0E73BD86
	v_mfma_i32_16x16x32_i8 v[156:159], a[136:137], v[224:225], v[156:159]// 0000000070E0: D3D7009C 0E73C188
	buffer_load_dwordx4 a[60:63], v37, s[24:27], 0 offen offset:3072// 0000000070E8: E05C1C00 80863C25
	v_mfma_i32_16x16x32_i8 v[156:159], a[138:139], v[226:227], v[156:159]// 0000000070F0: D3D7009C 0E73C58A
	v_mfma_i32_16x16x32_i8 v[156:159], a[140:141], v[228:229], v[156:159]// 0000000070F8: D3D7009C 0E73C98C
	ds_read_b128 v[196:199], v2 offset:1216                    // 000000007100: D9FE04C0 C4000002
	v_mfma_i32_16x16x32_i8 v[156:159], a[142:143], v[230:231], v[156:159]// 000000007108: D3D7009C 0E73CD8E
	s_waitcnt vmcnt(24)                                        // 000000007110: BF8C4F78
	v_mfma_i32_16x16x32_i8 v[160:163], a[144:145], v[200:201], v[160:163]// 000000007114: D3D700A0 0E839190
	buffer_load_dwordx4 a[64:67], v38, s[24:27], 0 offen       // 00000000711C: E05C1000 80864026
	v_mfma_i32_16x16x32_i8 v[160:163], a[146:147], v[202:203], v[160:163]// 000000007124: D3D700A0 0E839592
	v_mfma_i32_16x16x32_i8 v[160:163], a[148:149], v[204:205], v[160:163]// 00000000712C: D3D700A0 0E839994
	v_mfma_i32_16x16x32_i8 v[160:163], a[150:151], v[206:207], v[160:163]// 000000007134: D3D700A0 0E839D96
	v_mfma_i32_16x16x32_i8 v[160:163], a[152:153], v[208:209], v[160:163]// 00000000713C: D3D700A0 0E83A198
	buffer_load_dwordx4 a[68:71], v38, s[24:27], 0 offen offset:1024// 000000007144: E05C1400 80864426
	v_mfma_i32_16x16x32_i8 v[160:163], a[154:155], v[210:211], v[160:163]// 00000000714C: D3D700A0 0E83A59A
	v_mfma_i32_16x16x32_i8 v[160:163], a[156:157], v[212:213], v[160:163]// 000000007154: D3D700A0 0E83A99C
	v_mfma_i32_16x16x32_i8 v[160:163], a[158:159], v[214:215], v[160:163]// 00000000715C: D3D700A0 0E83AD9E
	v_mfma_i32_16x16x32_i8 v[164:167], a[144:145], v[216:217], v[164:167]// 000000007164: D3D700A4 0E93B190
	buffer_load_dwordx4 a[72:75], v38, s[24:27], 0 offen offset:2048// 00000000716C: E05C1800 80864826
	v_mfma_i32_16x16x32_i8 v[164:167], a[146:147], v[218:219], v[164:167]// 000000007174: D3D700A4 0E93B592
	v_mfma_i32_16x16x32_i8 v[164:167], a[148:149], v[220:221], v[164:167]// 00000000717C: D3D700A4 0E93B994
	v_mfma_i32_16x16x32_i8 v[164:167], a[150:151], v[222:223], v[164:167]// 000000007184: D3D700A4 0E93BD96
	v_mfma_i32_16x16x32_i8 v[164:167], a[152:153], v[224:225], v[164:167]// 00000000718C: D3D700A4 0E93C198
	buffer_load_dwordx4 a[76:79], v38, s[24:27], 0 offen offset:3072// 000000007194: E05C1C00 80864C26
	v_mfma_i32_16x16x32_i8 v[164:167], a[154:155], v[226:227], v[164:167]// 00000000719C: D3D700A4 0E93C59A
	v_mfma_i32_16x16x32_i8 v[164:167], a[156:157], v[228:229], v[164:167]// 0000000071A4: D3D700A4 0E93C99C
	v_mfma_i32_16x16x32_i8 v[164:167], a[158:159], v[230:231], v[164:167]// 0000000071AC: D3D700A4 0E93CD9E
	s_add_u32 s60, 0x300, s80                                  // 0000000071B4: 803C50FF 00000300
	s_cmp_lt_u32 s60, s81                                      // 0000000071BC: BF0A513C
	s_cselect_b32 s57, s57, 0                                  // 0000000071C0: 85398039
	s_add_u32 s60, 0x200, s80                                  // 0000000071C4: 803C50FF 00000200
	s_cmp_lt_u32 s60, s81                                      // 0000000071CC: BF0A513C
	s_cselect_b32 s58, s58, 0                                  // 0000000071D0: 853A803A
	s_add_u32 s20, s57, s20                                    // 0000000071D4: 80141439
	s_addc_u32 s21, 0, s21                                     // 0000000071D8: 82151580
	s_add_u32 s24, s58, s24                                    // 0000000071DC: 8018183A
	s_addc_u32 s25, 0, s25                                     // 0000000071E0: 82191980
	s_addk_i32 s80, 0x100                                      // 0000000071E4: B7500100
	s_cmp_lt_i32 s80, s81                                      // 0000000071E8: BF045150
	s_cbranch_scc0 label_10FD                                  // 0000000071EC: BF840001
	s_branch label_0EE6                                        // 0000000071F0: BF82FDE9

00000000000071f4 <label_10FD>:
	s_mov_b32 s36, -1                                          // 0000000071F4: BEA400C1
	s_mov_b32 s37, -1                                          // 0000000071F8: BEA500C1
	s_mov_b64 s[60:61], 0                                      // 0000000071FC: BEBC0180
	s_cmp_lt_u32 s82, s66                                      // 000000007200: BF0A4252
	s_cselect_b64 s[20:21], s[36:37], s[60:61]                 // 000000007204: 85943C24
	s_cmp_lt_u32 s83, s66                                      // 000000007208: BF0A4253
	s_cselect_b64 s[22:23], s[36:37], s[60:61]                 // 00000000720C: 85963C24
	s_cmp_lt_u32 s84, s66                                      // 000000007210: BF0A4254
	s_cselect_b64 s[24:25], s[36:37], s[60:61]                 // 000000007214: 85983C24
	s_cmp_lt_u32 s85, s66                                      // 000000007218: BF0A4255
	s_cselect_b64 s[26:27], s[36:37], s[60:61]                 // 00000000721C: 859A3C24
	s_cmp_lt_u32 s86, s66                                      // 000000007220: BF0A4256
	s_cselect_b64 s[28:29], s[36:37], s[60:61]                 // 000000007224: 859C3C24
	s_cmp_lt_u32 s87, s66                                      // 000000007228: BF0A4257
	s_cselect_b64 s[30:31], s[36:37], s[60:61]                 // 00000000722C: 859E3C24
	s_cmp_lt_u32 s88, s66                                      // 000000007230: BF0A4258
	s_cselect_b64 s[32:33], s[36:37], s[60:61]                 // 000000007234: 85A03C24
	s_cmp_lt_u32 s89, s66                                      // 000000007238: BF0A4259
	s_cselect_b64 s[34:35], s[36:37], s[60:61]                 // 00000000723C: 85A23C24
	v_cvt_f32_i32_e32 v128, v128                               // 000000007240: 7F000B80
	v_cvt_f32_i32_e32 v129, v129                               // 000000007244: 7F020B81
	v_cvt_f32_i32_e32 v130, v130                               // 000000007248: 7F040B82
	v_cvt_f32_i32_e32 v131, v131                               // 00000000724C: 7F060B83
	v_mul_f32_e32 v128, v14, v128                              // 000000007250: 0B01010E
	v_mul_f32_e32 v129, v14, v129                              // 000000007254: 0B03030E
	v_mul_f32_e32 v130, v14, v130                              // 000000007258: 0B05050E
	v_mul_f32_e32 v131, v14, v131                              // 00000000725C: 0B07070E
	v_mul_f32_dpp v128, v16, v128 row_newbcast:0 row_mask:0xf bank_mask:0xf// 000000007260: 0B0100FA FF015010
	v_mul_f32_dpp v129, v16, v129 row_newbcast:1 row_mask:0xf bank_mask:0xf// 000000007268: 0B0302FA FF015110
	v_mul_f32_dpp v130, v16, v130 row_newbcast:2 row_mask:0xf bank_mask:0xf// 000000007270: 0B0504FA FF015210
	v_mul_f32_dpp v131, v16, v131 row_newbcast:3 row_mask:0xf bank_mask:0xf// 000000007278: 0B0706FA FF015310
	v_cvt_f32_i32_e32 v132, v132                               // 000000007280: 7F080B84
	v_cvt_f32_i32_e32 v133, v133                               // 000000007284: 7F0A0B85
	v_cvt_f32_i32_e32 v134, v134                               // 000000007288: 7F0C0B86
	v_cvt_f32_i32_e32 v135, v135                               // 00000000728C: 7F0E0B87
	v_mul_f32_e32 v132, v15, v132                              // 000000007290: 0B09090F
	v_mul_f32_e32 v133, v15, v133                              // 000000007294: 0B0B0B0F
	v_mul_f32_e32 v134, v15, v134                              // 000000007298: 0B0D0D0F
	v_mul_f32_e32 v135, v15, v135                              // 00000000729C: 0B0F0F0F
	v_mul_f32_dpp v132, v16, v132 row_newbcast:0 row_mask:0xf bank_mask:0xf// 0000000072A0: 0B0908FA FF015010
	v_mul_f32_dpp v133, v16, v133 row_newbcast:1 row_mask:0xf bank_mask:0xf// 0000000072A8: 0B0B0AFA FF015110
	v_mul_f32_dpp v134, v16, v134 row_newbcast:2 row_mask:0xf bank_mask:0xf// 0000000072B0: 0B0D0CFA FF015210
	v_mul_f32_dpp v135, v16, v135 row_newbcast:3 row_mask:0xf bank_mask:0xf// 0000000072B8: 0B0F0EFA FF015310
	v_cvt_f32_i32_e32 v136, v136                               // 0000000072C0: 7F100B88
	v_cvt_f32_i32_e32 v137, v137                               // 0000000072C4: 7F120B89
	v_cvt_f32_i32_e32 v138, v138                               // 0000000072C8: 7F140B8A
	v_cvt_f32_i32_e32 v139, v139                               // 0000000072CC: 7F160B8B
	v_mul_f32_e32 v136, v14, v136                              // 0000000072D0: 0B11110E
	v_mul_f32_e32 v137, v14, v137                              // 0000000072D4: 0B13130E
	v_mul_f32_e32 v138, v14, v138                              // 0000000072D8: 0B15150E
	v_mul_f32_e32 v139, v14, v139                              // 0000000072DC: 0B17170E
	v_mul_f32_dpp v136, v16, v136 row_newbcast:4 row_mask:0xf bank_mask:0xf// 0000000072E0: 0B1110FA FF015410
	v_mul_f32_dpp v137, v16, v137 row_newbcast:5 row_mask:0xf bank_mask:0xf// 0000000072E8: 0B1312FA FF015510
	v_mul_f32_dpp v138, v16, v138 row_newbcast:6 row_mask:0xf bank_mask:0xf// 0000000072F0: 0B1514FA FF015610
	v_mul_f32_dpp v139, v16, v139 row_newbcast:7 row_mask:0xf bank_mask:0xf// 0000000072F8: 0B1716FA FF015710
	v_cvt_f32_i32_e32 v140, v140                               // 000000007300: 7F180B8C
	v_cvt_f32_i32_e32 v141, v141                               // 000000007304: 7F1A0B8D
	v_cvt_f32_i32_e32 v142, v142                               // 000000007308: 7F1C0B8E
	v_cvt_f32_i32_e32 v143, v143                               // 00000000730C: 7F1E0B8F
	v_mul_f32_e32 v140, v15, v140                              // 000000007310: 0B19190F
	v_mul_f32_e32 v141, v15, v141                              // 000000007314: 0B1B1B0F
	v_mul_f32_e32 v142, v15, v142                              // 000000007318: 0B1D1D0F
	v_mul_f32_e32 v143, v15, v143                              // 00000000731C: 0B1F1F0F
	v_mul_f32_dpp v140, v16, v140 row_newbcast:4 row_mask:0xf bank_mask:0xf// 000000007320: 0B1918FA FF015410
	v_mul_f32_dpp v141, v16, v141 row_newbcast:5 row_mask:0xf bank_mask:0xf// 000000007328: 0B1B1AFA FF015510
	v_mul_f32_dpp v142, v16, v142 row_newbcast:6 row_mask:0xf bank_mask:0xf// 000000007330: 0B1D1CFA FF015610
	v_mul_f32_dpp v143, v16, v143 row_newbcast:7 row_mask:0xf bank_mask:0xf// 000000007338: 0B1F1EFA FF015710
	v_cvt_f32_i32_e32 v144, v144                               // 000000007340: 7F200B90
	v_cvt_f32_i32_e32 v145, v145                               // 000000007344: 7F220B91
	v_cvt_f32_i32_e32 v146, v146                               // 000000007348: 7F240B92
	v_cvt_f32_i32_e32 v147, v147                               // 00000000734C: 7F260B93
	v_mul_f32_e32 v144, v14, v144                              // 000000007350: 0B21210E
	v_mul_f32_e32 v145, v14, v145                              // 000000007354: 0B23230E
	v_mul_f32_e32 v146, v14, v146                              // 000000007358: 0B25250E
	v_mul_f32_e32 v147, v14, v147                              // 00000000735C: 0B27270E
	v_mul_f32_dpp v144, v16, v144 row_newbcast:8 row_mask:0xf bank_mask:0xf// 000000007360: 0B2120FA FF015810
	v_mul_f32_dpp v145, v16, v145 row_newbcast:9 row_mask:0xf bank_mask:0xf// 000000007368: 0B2322FA FF015910
	v_mul_f32_dpp v146, v16, v146 row_newbcast:10 row_mask:0xf bank_mask:0xf// 000000007370: 0B2524FA FF015A10
	v_mul_f32_dpp v147, v16, v147 row_newbcast:11 row_mask:0xf bank_mask:0xf// 000000007378: 0B2726FA FF015B10
	v_cvt_f32_i32_e32 v148, v148                               // 000000007380: 7F280B94
	v_cvt_f32_i32_e32 v149, v149                               // 000000007384: 7F2A0B95
	v_cvt_f32_i32_e32 v150, v150                               // 000000007388: 7F2C0B96
	v_cvt_f32_i32_e32 v151, v151                               // 00000000738C: 7F2E0B97
	v_mul_f32_e32 v148, v15, v148                              // 000000007390: 0B29290F
	v_mul_f32_e32 v149, v15, v149                              // 000000007394: 0B2B2B0F
	v_mul_f32_e32 v150, v15, v150                              // 000000007398: 0B2D2D0F
	v_mul_f32_e32 v151, v15, v151                              // 00000000739C: 0B2F2F0F
	v_mul_f32_dpp v148, v16, v148 row_newbcast:8 row_mask:0xf bank_mask:0xf// 0000000073A0: 0B2928FA FF015810
	v_mul_f32_dpp v149, v16, v149 row_newbcast:9 row_mask:0xf bank_mask:0xf// 0000000073A8: 0B2B2AFA FF015910
	v_mul_f32_dpp v150, v16, v150 row_newbcast:10 row_mask:0xf bank_mask:0xf// 0000000073B0: 0B2D2CFA FF015A10
	v_mul_f32_dpp v151, v16, v151 row_newbcast:11 row_mask:0xf bank_mask:0xf// 0000000073B8: 0B2F2EFA FF015B10
	v_cvt_f32_i32_e32 v152, v152                               // 0000000073C0: 7F300B98
	v_cvt_f32_i32_e32 v153, v153                               // 0000000073C4: 7F320B99
	v_cvt_f32_i32_e32 v154, v154                               // 0000000073C8: 7F340B9A
	v_cvt_f32_i32_e32 v155, v155                               // 0000000073CC: 7F360B9B
	v_mul_f32_e32 v152, v14, v152                              // 0000000073D0: 0B31310E
	v_mul_f32_e32 v153, v14, v153                              // 0000000073D4: 0B33330E
	v_mul_f32_e32 v154, v14, v154                              // 0000000073D8: 0B35350E
	v_mul_f32_e32 v155, v14, v155                              // 0000000073DC: 0B37370E
	v_mul_f32_dpp v152, v16, v152 row_newbcast:12 row_mask:0xf bank_mask:0xf// 0000000073E0: 0B3130FA FF015C10
	v_mul_f32_dpp v153, v16, v153 row_newbcast:13 row_mask:0xf bank_mask:0xf// 0000000073E8: 0B3332FA FF015D10
	v_mul_f32_dpp v154, v16, v154 row_newbcast:14 row_mask:0xf bank_mask:0xf// 0000000073F0: 0B3534FA FF015E10
	v_mul_f32_dpp v155, v16, v155 row_newbcast:15 row_mask:0xf bank_mask:0xf// 0000000073F8: 0B3736FA FF015F10
	v_cvt_f32_i32_e32 v156, v156                               // 000000007400: 7F380B9C
	v_cvt_f32_i32_e32 v157, v157                               // 000000007404: 7F3A0B9D
	v_cvt_f32_i32_e32 v158, v158                               // 000000007408: 7F3C0B9E
	v_cvt_f32_i32_e32 v159, v159                               // 00000000740C: 7F3E0B9F
	v_mul_f32_e32 v156, v15, v156                              // 000000007410: 0B39390F
	v_mul_f32_e32 v157, v15, v157                              // 000000007414: 0B3B3B0F
	v_mul_f32_e32 v158, v15, v158                              // 000000007418: 0B3D3D0F
	v_mul_f32_e32 v159, v15, v159                              // 00000000741C: 0B3F3F0F
	v_mul_f32_dpp v156, v16, v156 row_newbcast:12 row_mask:0xf bank_mask:0xf// 000000007420: 0B3938FA FF015C10
	v_mul_f32_dpp v157, v16, v157 row_newbcast:13 row_mask:0xf bank_mask:0xf// 000000007428: 0B3B3AFA FF015D10
	v_mul_f32_dpp v158, v16, v158 row_newbcast:14 row_mask:0xf bank_mask:0xf// 000000007430: 0B3D3CFA FF015E10
	v_mul_f32_dpp v159, v16, v159 row_newbcast:15 row_mask:0xf bank_mask:0xf// 000000007438: 0B3F3EFA FF015F10
	v_cvt_f32_i32_e32 v160, v160                               // 000000007440: 7F400BA0
	v_cvt_f32_i32_e32 v161, v161                               // 000000007444: 7F420BA1
	v_cvt_f32_i32_e32 v162, v162                               // 000000007448: 7F440BA2
	v_cvt_f32_i32_e32 v163, v163                               // 00000000744C: 7F460BA3
	v_mul_f32_e32 v160, v14, v160                              // 000000007450: 0B41410E
	v_mul_f32_e32 v161, v14, v161                              // 000000007454: 0B43430E
	v_mul_f32_e32 v162, v14, v162                              // 000000007458: 0B45450E
	v_mul_f32_e32 v163, v14, v163                              // 00000000745C: 0B47470E
	v_mul_f32_dpp v160, v17, v160 row_newbcast:0 row_mask:0xf bank_mask:0xf// 000000007460: 0B4140FA FF015011
	v_mul_f32_dpp v161, v17, v161 row_newbcast:1 row_mask:0xf bank_mask:0xf// 000000007468: 0B4342FA FF015111
	v_mul_f32_dpp v162, v17, v162 row_newbcast:2 row_mask:0xf bank_mask:0xf// 000000007470: 0B4544FA FF015211
	v_mul_f32_dpp v163, v17, v163 row_newbcast:3 row_mask:0xf bank_mask:0xf// 000000007478: 0B4746FA FF015311
	v_cvt_f32_i32_e32 v164, v164                               // 000000007480: 7F480BA4
	v_cvt_f32_i32_e32 v165, v165                               // 000000007484: 7F4A0BA5
	v_cvt_f32_i32_e32 v166, v166                               // 000000007488: 7F4C0BA6
	v_cvt_f32_i32_e32 v167, v167                               // 00000000748C: 7F4E0BA7
	v_mul_f32_e32 v164, v15, v164                              // 000000007490: 0B49490F
	v_mul_f32_e32 v165, v15, v165                              // 000000007494: 0B4B4B0F
	v_mul_f32_e32 v166, v15, v166                              // 000000007498: 0B4D4D0F
	v_mul_f32_e32 v167, v15, v167                              // 00000000749C: 0B4F4F0F
	v_mul_f32_dpp v164, v17, v164 row_newbcast:0 row_mask:0xf bank_mask:0xf// 0000000074A0: 0B4948FA FF015011
	v_mul_f32_dpp v165, v17, v165 row_newbcast:1 row_mask:0xf bank_mask:0xf// 0000000074A8: 0B4B4AFA FF015111
	v_mul_f32_dpp v166, v17, v166 row_newbcast:2 row_mask:0xf bank_mask:0xf// 0000000074B0: 0B4D4CFA FF015211
	v_mul_f32_dpp v167, v17, v167 row_newbcast:3 row_mask:0xf bank_mask:0xf// 0000000074B8: 0B4F4EFA FF015311
	s_waitcnt vmcnt(16)                                        // 0000000074C0: BF8C4F70
	buffer_load_dwordx4 a[0:3], v39, s[12:15], 0 offen         // 0000000074C4: E05C1000 80830027
	v_mul_f32_e32 v48, v128, v128                              // 0000000074CC: 0A610180
	v_mul_f32_e32 v49, v129, v129                              // 0000000074D0: 0A630381
	v_mul_f32_e32 v50, v130, v130                              // 0000000074D4: 0A650582
	v_mul_f32_e32 v51, v131, v131                              // 0000000074D8: 0A670783
	v_fma_f32 v48, v48, s77, v1                                // 0000000074DC: D1CB0030 04049B30
	v_fma_f32 v49, v49, s77, v1                                // 0000000074E4: D1CB0031 04049B31
	v_fma_f32 v50, v50, s77, v1                                // 0000000074EC: D1CB0032 04049B32
	v_fma_f32 v51, v51, s77, v1                                // 0000000074F4: D1CB0033 04049B33
	v_mul_f32_e32 v48, v48, v128                               // 0000000074FC: 0A610130
	v_mul_f32_e32 v49, v49, v129                               // 000000007500: 0A630331
	v_mul_f32_e32 v50, v50, v130                               // 000000007504: 0A650532
	v_mul_f32_e32 v51, v51, v131                               // 000000007508: 0A670733
	v_mul_f32_e64 v48, v48, s6                                 // 00000000750C: D1050030 00000D30
	v_mul_f32_e64 v49, v49, s6                                 // 000000007514: D1050031 00000D31
	v_mul_f32_e64 v50, v50, s6                                 // 00000000751C: D1050032 00000D32
	v_mul_f32_e64 v51, v51, s6                                 // 000000007524: D1050033 00000D33
	v_exp_f32_e32 v48, v48                                     // 00000000752C: 7E604130
	v_exp_f32_e32 v49, v49                                     // 000000007530: 7E624131
	v_exp_f32_e32 v50, v50                                     // 000000007534: 7E644132
	v_exp_f32_e32 v51, v51                                     // 000000007538: 7E664133
	buffer_load_dwordx4 a[4:7], v40, s[12:15], 0 offen         // 00000000753C: E05C1000 80830428
	v_add_f32_e64 v48, v48, 1.0                                // 000000007544: D1010030 0001E530
	v_add_f32_e64 v49, v49, 1.0                                // 00000000754C: D1010031 0001E531
	v_add_f32_e64 v50, v50, 1.0                                // 000000007554: D1010032 0001E532
	v_add_f32_e64 v51, v51, 1.0                                // 00000000755C: D1010033 0001E533
	v_rcp_f32_e32 v48, v48                                     // 000000007564: 7E604530
	v_rcp_f32_e32 v49, v49                                     // 000000007568: 7E624531
	v_rcp_f32_e32 v50, v50                                     // 00000000756C: 7E644532
	v_rcp_f32_e32 v51, v51                                     // 000000007570: 7E664533
	v_mul_f32_e32 v128, v128, v48                              // 000000007574: 0B006180
	v_mul_f32_e32 v129, v129, v49                              // 000000007578: 0B026381
	v_mul_f32_e32 v130, v130, v50                              // 00000000757C: 0B046582
	v_mul_f32_e32 v131, v131, v51                              // 000000007580: 0B066783
	buffer_load_dwordx4 a[8:11], v41, s[12:15], 0 offen        // 000000007584: E05C1000 80830829
	v_mul_f32_e32 v48, v132, v132                              // 00000000758C: 0A610984
	v_mul_f32_e32 v49, v133, v133                              // 000000007590: 0A630B85
	v_mul_f32_e32 v50, v134, v134                              // 000000007594: 0A650D86
	v_mul_f32_e32 v51, v135, v135                              // 000000007598: 0A670F87
	v_fma_f32 v48, v48, s77, v1                                // 00000000759C: D1CB0030 04049B30
	v_fma_f32 v49, v49, s77, v1                                // 0000000075A4: D1CB0031 04049B31
	v_fma_f32 v50, v50, s77, v1                                // 0000000075AC: D1CB0032 04049B32
	v_fma_f32 v51, v51, s77, v1                                // 0000000075B4: D1CB0033 04049B33
	v_mul_f32_e32 v48, v48, v132                               // 0000000075BC: 0A610930
	v_mul_f32_e32 v49, v49, v133                               // 0000000075C0: 0A630B31
	v_mul_f32_e32 v50, v50, v134                               // 0000000075C4: 0A650D32
	v_mul_f32_e32 v51, v51, v135                               // 0000000075C8: 0A670F33
	v_mul_f32_e64 v48, v48, s6                                 // 0000000075CC: D1050030 00000D30
	v_mul_f32_e64 v49, v49, s6                                 // 0000000075D4: D1050031 00000D31
	v_mul_f32_e64 v50, v50, s6                                 // 0000000075DC: D1050032 00000D32
	v_mul_f32_e64 v51, v51, s6                                 // 0000000075E4: D1050033 00000D33
	v_exp_f32_e32 v48, v48                                     // 0000000075EC: 7E604130
	v_exp_f32_e32 v49, v49                                     // 0000000075F0: 7E624131
	v_exp_f32_e32 v50, v50                                     // 0000000075F4: 7E644132
	v_exp_f32_e32 v51, v51                                     // 0000000075F8: 7E664133
	buffer_load_dwordx4 a[12:15], v42, s[12:15], 0 offen       // 0000000075FC: E05C1000 80830C2A
	s_add_u32 s12, s78, s12                                    // 000000007604: 800C0C4E
	s_addc_u32 s13, 0, s13                                     // 000000007608: 820D0D80
	v_add_f32_e64 v48, v48, 1.0                                // 00000000760C: D1010030 0001E530
	v_add_f32_e64 v49, v49, 1.0                                // 000000007614: D1010031 0001E531
	v_add_f32_e64 v50, v50, 1.0                                // 00000000761C: D1010032 0001E532
	v_add_f32_e64 v51, v51, 1.0                                // 000000007624: D1010033 0001E533
	v_rcp_f32_e32 v48, v48                                     // 00000000762C: 7E604530
	v_rcp_f32_e32 v49, v49                                     // 000000007630: 7E624531
	v_rcp_f32_e32 v50, v50                                     // 000000007634: 7E644532
	v_rcp_f32_e32 v51, v51                                     // 000000007638: 7E664533
	v_mul_f32_e32 v132, v132, v48                              // 00000000763C: 0B086184
	v_mul_f32_e32 v133, v133, v49                              // 000000007640: 0B0A6385
	v_mul_f32_e32 v134, v134, v50                              // 000000007644: 0B0C6586
	v_mul_f32_e32 v135, v135, v51                              // 000000007648: 0B0E6787
	s_waitcnt vmcnt(16)                                        // 00000000764C: BF8C4F70
	buffer_load_dwordx4 a[16:19], v39, s[12:15], 0 offen       // 000000007650: E05C1000 80831027
	v_mul_f32_e32 v48, v136, v136                              // 000000007658: 0A611188
	v_mul_f32_e32 v49, v137, v137                              // 00000000765C: 0A631389
	v_mul_f32_e32 v50, v138, v138                              // 000000007660: 0A65158A
	v_mul_f32_e32 v51, v139, v139                              // 000000007664: 0A67178B
	v_fma_f32 v48, v48, s77, v1                                // 000000007668: D1CB0030 04049B30
	v_fma_f32 v49, v49, s77, v1                                // 000000007670: D1CB0031 04049B31
	v_fma_f32 v50, v50, s77, v1                                // 000000007678: D1CB0032 04049B32
	v_fma_f32 v51, v51, s77, v1                                // 000000007680: D1CB0033 04049B33
	v_mul_f32_e32 v48, v48, v136                               // 000000007688: 0A611130
	v_mul_f32_e32 v49, v49, v137                               // 00000000768C: 0A631331
	v_mul_f32_e32 v50, v50, v138                               // 000000007690: 0A651532
	v_mul_f32_e32 v51, v51, v139                               // 000000007694: 0A671733
	v_mul_f32_e64 v48, v48, s6                                 // 000000007698: D1050030 00000D30
	v_mul_f32_e64 v49, v49, s6                                 // 0000000076A0: D1050031 00000D31
	v_mul_f32_e64 v50, v50, s6                                 // 0000000076A8: D1050032 00000D32
	v_mul_f32_e64 v51, v51, s6                                 // 0000000076B0: D1050033 00000D33
	v_exp_f32_e32 v48, v48                                     // 0000000076B8: 7E604130
	v_exp_f32_e32 v49, v49                                     // 0000000076BC: 7E624131
	v_exp_f32_e32 v50, v50                                     // 0000000076C0: 7E644132
	v_exp_f32_e32 v51, v51                                     // 0000000076C4: 7E664133
	buffer_load_dwordx4 a[20:23], v40, s[12:15], 0 offen       // 0000000076C8: E05C1000 80831428
	v_add_f32_e64 v48, v48, 1.0                                // 0000000076D0: D1010030 0001E530
	v_add_f32_e64 v49, v49, 1.0                                // 0000000076D8: D1010031 0001E531
	v_add_f32_e64 v50, v50, 1.0                                // 0000000076E0: D1010032 0001E532
	v_add_f32_e64 v51, v51, 1.0                                // 0000000076E8: D1010033 0001E533
	v_rcp_f32_e32 v48, v48                                     // 0000000076F0: 7E604530
	v_rcp_f32_e32 v49, v49                                     // 0000000076F4: 7E624531
	v_rcp_f32_e32 v50, v50                                     // 0000000076F8: 7E644532
	v_rcp_f32_e32 v51, v51                                     // 0000000076FC: 7E664533
	v_mul_f32_e32 v136, v136, v48                              // 000000007700: 0B106188
	v_mul_f32_e32 v137, v137, v49                              // 000000007704: 0B126389
	v_mul_f32_e32 v138, v138, v50                              // 000000007708: 0B14658A
	v_mul_f32_e32 v139, v139, v51                              // 00000000770C: 0B16678B
	buffer_load_dwordx4 a[24:27], v41, s[12:15], 0 offen       // 000000007710: E05C1000 80831829
	v_mul_f32_e32 v48, v140, v140                              // 000000007718: 0A61198C
	v_mul_f32_e32 v49, v141, v141                              // 00000000771C: 0A631B8D
	v_mul_f32_e32 v50, v142, v142                              // 000000007720: 0A651D8E
	v_mul_f32_e32 v51, v143, v143                              // 000000007724: 0A671F8F
	v_fma_f32 v48, v48, s77, v1                                // 000000007728: D1CB0030 04049B30
	v_fma_f32 v49, v49, s77, v1                                // 000000007730: D1CB0031 04049B31
	v_fma_f32 v50, v50, s77, v1                                // 000000007738: D1CB0032 04049B32
	v_fma_f32 v51, v51, s77, v1                                // 000000007740: D1CB0033 04049B33
	v_mul_f32_e32 v48, v48, v140                               // 000000007748: 0A611930
	v_mul_f32_e32 v49, v49, v141                               // 00000000774C: 0A631B31
	v_mul_f32_e32 v50, v50, v142                               // 000000007750: 0A651D32
	v_mul_f32_e32 v51, v51, v143                               // 000000007754: 0A671F33
	v_mul_f32_e64 v48, v48, s6                                 // 000000007758: D1050030 00000D30
	v_mul_f32_e64 v49, v49, s6                                 // 000000007760: D1050031 00000D31
	v_mul_f32_e64 v50, v50, s6                                 // 000000007768: D1050032 00000D32
	v_mul_f32_e64 v51, v51, s6                                 // 000000007770: D1050033 00000D33
	v_exp_f32_e32 v48, v48                                     // 000000007778: 7E604130
	v_exp_f32_e32 v49, v49                                     // 00000000777C: 7E624131
	v_exp_f32_e32 v50, v50                                     // 000000007780: 7E644132
	v_exp_f32_e32 v51, v51                                     // 000000007784: 7E664133
	buffer_load_dwordx4 a[28:31], v42, s[12:15], 0 offen       // 000000007788: E05C1000 80831C2A
	s_add_u32 s12, s78, s12                                    // 000000007790: 800C0C4E
	s_addc_u32 s13, 0, s13                                     // 000000007794: 820D0D80
	v_add_f32_e64 v48, v48, 1.0                                // 000000007798: D1010030 0001E530
	v_add_f32_e64 v49, v49, 1.0                                // 0000000077A0: D1010031 0001E531
	v_add_f32_e64 v50, v50, 1.0                                // 0000000077A8: D1010032 0001E532
	v_add_f32_e64 v51, v51, 1.0                                // 0000000077B0: D1010033 0001E533
	v_rcp_f32_e32 v48, v48                                     // 0000000077B8: 7E604530
	v_rcp_f32_e32 v49, v49                                     // 0000000077BC: 7E624531
	v_rcp_f32_e32 v50, v50                                     // 0000000077C0: 7E644532
	v_rcp_f32_e32 v51, v51                                     // 0000000077C4: 7E664533
	v_mul_f32_e32 v140, v140, v48                              // 0000000077C8: 0B18618C
	v_mul_f32_e32 v141, v141, v49                              // 0000000077CC: 0B1A638D
	v_mul_f32_e32 v142, v142, v50                              // 0000000077D0: 0B1C658E
	v_mul_f32_e32 v143, v143, v51                              // 0000000077D4: 0B1E678F
	s_waitcnt vmcnt(16)                                        // 0000000077D8: BF8C4F70
	buffer_load_dwordx4 a[32:35], v39, s[12:15], 0 offen       // 0000000077DC: E05C1000 80832027
	v_mul_f32_e32 v48, v144, v144                              // 0000000077E4: 0A612190
	v_mul_f32_e32 v49, v145, v145                              // 0000000077E8: 0A632391
	v_mul_f32_e32 v50, v146, v146                              // 0000000077EC: 0A652592
	v_mul_f32_e32 v51, v147, v147                              // 0000000077F0: 0A672793
	v_fma_f32 v48, v48, s77, v1                                // 0000000077F4: D1CB0030 04049B30
	v_fma_f32 v49, v49, s77, v1                                // 0000000077FC: D1CB0031 04049B31
	v_fma_f32 v50, v50, s77, v1                                // 000000007804: D1CB0032 04049B32
	v_fma_f32 v51, v51, s77, v1                                // 00000000780C: D1CB0033 04049B33
	v_mul_f32_e32 v48, v48, v144                               // 000000007814: 0A612130
	v_mul_f32_e32 v49, v49, v145                               // 000000007818: 0A632331
	v_mul_f32_e32 v50, v50, v146                               // 00000000781C: 0A652532
	v_mul_f32_e32 v51, v51, v147                               // 000000007820: 0A672733
	v_mul_f32_e64 v48, v48, s6                                 // 000000007824: D1050030 00000D30
	v_mul_f32_e64 v49, v49, s6                                 // 00000000782C: D1050031 00000D31
	v_mul_f32_e64 v50, v50, s6                                 // 000000007834: D1050032 00000D32
	v_mul_f32_e64 v51, v51, s6                                 // 00000000783C: D1050033 00000D33
	v_exp_f32_e32 v48, v48                                     // 000000007844: 7E604130
	v_exp_f32_e32 v49, v49                                     // 000000007848: 7E624131
	v_exp_f32_e32 v50, v50                                     // 00000000784C: 7E644132
	v_exp_f32_e32 v51, v51                                     // 000000007850: 7E664133
	buffer_load_dwordx4 a[36:39], v40, s[12:15], 0 offen       // 000000007854: E05C1000 80832428
	v_add_f32_e64 v48, v48, 1.0                                // 00000000785C: D1010030 0001E530
	v_add_f32_e64 v49, v49, 1.0                                // 000000007864: D1010031 0001E531
	v_add_f32_e64 v50, v50, 1.0                                // 00000000786C: D1010032 0001E532
	v_add_f32_e64 v51, v51, 1.0                                // 000000007874: D1010033 0001E533
	v_rcp_f32_e32 v48, v48                                     // 00000000787C: 7E604530
	v_rcp_f32_e32 v49, v49                                     // 000000007880: 7E624531
	v_rcp_f32_e32 v50, v50                                     // 000000007884: 7E644532
	v_rcp_f32_e32 v51, v51                                     // 000000007888: 7E664533
	v_mul_f32_e32 v144, v144, v48                              // 00000000788C: 0B206190
	v_mul_f32_e32 v145, v145, v49                              // 000000007890: 0B226391
	v_mul_f32_e32 v146, v146, v50                              // 000000007894: 0B246592
	v_mul_f32_e32 v147, v147, v51                              // 000000007898: 0B266793
	buffer_load_dwordx4 a[40:43], v41, s[12:15], 0 offen       // 00000000789C: E05C1000 80832829
	v_mul_f32_e32 v48, v148, v148                              // 0000000078A4: 0A612994
	v_mul_f32_e32 v49, v149, v149                              // 0000000078A8: 0A632B95
	v_mul_f32_e32 v50, v150, v150                              // 0000000078AC: 0A652D96
	v_mul_f32_e32 v51, v151, v151                              // 0000000078B0: 0A672F97
	v_fma_f32 v48, v48, s77, v1                                // 0000000078B4: D1CB0030 04049B30
	v_fma_f32 v49, v49, s77, v1                                // 0000000078BC: D1CB0031 04049B31
	v_fma_f32 v50, v50, s77, v1                                // 0000000078C4: D1CB0032 04049B32
	v_fma_f32 v51, v51, s77, v1                                // 0000000078CC: D1CB0033 04049B33
	v_mul_f32_e32 v48, v48, v148                               // 0000000078D4: 0A612930
	v_mul_f32_e32 v49, v49, v149                               // 0000000078D8: 0A632B31
	v_mul_f32_e32 v50, v50, v150                               // 0000000078DC: 0A652D32
	v_mul_f32_e32 v51, v51, v151                               // 0000000078E0: 0A672F33
	v_mul_f32_e64 v48, v48, s6                                 // 0000000078E4: D1050030 00000D30
	v_mul_f32_e64 v49, v49, s6                                 // 0000000078EC: D1050031 00000D31
	v_mul_f32_e64 v50, v50, s6                                 // 0000000078F4: D1050032 00000D32
	v_mul_f32_e64 v51, v51, s6                                 // 0000000078FC: D1050033 00000D33
	v_exp_f32_e32 v48, v48                                     // 000000007904: 7E604130
	v_exp_f32_e32 v49, v49                                     // 000000007908: 7E624131
	v_exp_f32_e32 v50, v50                                     // 00000000790C: 7E644132
	v_exp_f32_e32 v51, v51                                     // 000000007910: 7E664133
	buffer_load_dwordx4 a[44:47], v42, s[12:15], 0 offen       // 000000007914: E05C1000 80832C2A
	s_add_u32 s12, s78, s12                                    // 00000000791C: 800C0C4E
	s_addc_u32 s13, 0, s13                                     // 000000007920: 820D0D80
	v_add_f32_e64 v48, v48, 1.0                                // 000000007924: D1010030 0001E530
	v_add_f32_e64 v49, v49, 1.0                                // 00000000792C: D1010031 0001E531
	v_add_f32_e64 v50, v50, 1.0                                // 000000007934: D1010032 0001E532
	v_add_f32_e64 v51, v51, 1.0                                // 00000000793C: D1010033 0001E533
	v_rcp_f32_e32 v48, v48                                     // 000000007944: 7E604530
	v_rcp_f32_e32 v49, v49                                     // 000000007948: 7E624531
	v_rcp_f32_e32 v50, v50                                     // 00000000794C: 7E644532
	v_rcp_f32_e32 v51, v51                                     // 000000007950: 7E664533
	v_mul_f32_e32 v148, v148, v48                              // 000000007954: 0B286194
	v_mul_f32_e32 v149, v149, v49                              // 000000007958: 0B2A6395
	v_mul_f32_e32 v150, v150, v50                              // 00000000795C: 0B2C6596
	v_mul_f32_e32 v151, v151, v51                              // 000000007960: 0B2E6797
	s_waitcnt vmcnt(16)                                        // 000000007964: BF8C4F70
	buffer_load_dwordx4 a[48:51], v39, s[12:15], 0 offen       // 000000007968: E05C1000 80833027
	v_mul_f32_e32 v48, v152, v152                              // 000000007970: 0A613198
	v_mul_f32_e32 v49, v153, v153                              // 000000007974: 0A633399
	v_mul_f32_e32 v50, v154, v154                              // 000000007978: 0A65359A
	v_mul_f32_e32 v51, v155, v155                              // 00000000797C: 0A67379B
	v_fma_f32 v48, v48, s77, v1                                // 000000007980: D1CB0030 04049B30
	v_fma_f32 v49, v49, s77, v1                                // 000000007988: D1CB0031 04049B31
	v_fma_f32 v50, v50, s77, v1                                // 000000007990: D1CB0032 04049B32
	v_fma_f32 v51, v51, s77, v1                                // 000000007998: D1CB0033 04049B33
	v_mul_f32_e32 v48, v48, v152                               // 0000000079A0: 0A613130
	v_mul_f32_e32 v49, v49, v153                               // 0000000079A4: 0A633331
	v_mul_f32_e32 v50, v50, v154                               // 0000000079A8: 0A653532
	v_mul_f32_e32 v51, v51, v155                               // 0000000079AC: 0A673733
	v_mul_f32_e64 v48, v48, s6                                 // 0000000079B0: D1050030 00000D30
	v_mul_f32_e64 v49, v49, s6                                 // 0000000079B8: D1050031 00000D31
	v_mul_f32_e64 v50, v50, s6                                 // 0000000079C0: D1050032 00000D32
	v_mul_f32_e64 v51, v51, s6                                 // 0000000079C8: D1050033 00000D33
	v_exp_f32_e32 v48, v48                                     // 0000000079D0: 7E604130
	v_exp_f32_e32 v49, v49                                     // 0000000079D4: 7E624131
	v_exp_f32_e32 v50, v50                                     // 0000000079D8: 7E644132
	v_exp_f32_e32 v51, v51                                     // 0000000079DC: 7E664133
	buffer_load_dwordx4 a[52:55], v40, s[12:15], 0 offen       // 0000000079E0: E05C1000 80833428
	v_add_f32_e64 v48, v48, 1.0                                // 0000000079E8: D1010030 0001E530
	v_add_f32_e64 v49, v49, 1.0                                // 0000000079F0: D1010031 0001E531
	v_add_f32_e64 v50, v50, 1.0                                // 0000000079F8: D1010032 0001E532
	v_add_f32_e64 v51, v51, 1.0                                // 000000007A00: D1010033 0001E533
	v_rcp_f32_e32 v48, v48                                     // 000000007A08: 7E604530
	v_rcp_f32_e32 v49, v49                                     // 000000007A0C: 7E624531
	v_rcp_f32_e32 v50, v50                                     // 000000007A10: 7E644532
	v_rcp_f32_e32 v51, v51                                     // 000000007A14: 7E664533
	v_mul_f32_e32 v152, v152, v48                              // 000000007A18: 0B306198
	v_mul_f32_e32 v153, v153, v49                              // 000000007A1C: 0B326399
	v_mul_f32_e32 v154, v154, v50                              // 000000007A20: 0B34659A
	v_mul_f32_e32 v155, v155, v51                              // 000000007A24: 0B36679B
	buffer_load_dwordx4 a[56:59], v41, s[12:15], 0 offen       // 000000007A28: E05C1000 80833829
	v_mul_f32_e32 v48, v156, v156                              // 000000007A30: 0A61399C
	v_mul_f32_e32 v49, v157, v157                              // 000000007A34: 0A633B9D
	v_mul_f32_e32 v50, v158, v158                              // 000000007A38: 0A653D9E
	v_mul_f32_e32 v51, v159, v159                              // 000000007A3C: 0A673F9F
	v_fma_f32 v48, v48, s77, v1                                // 000000007A40: D1CB0030 04049B30
	v_fma_f32 v49, v49, s77, v1                                // 000000007A48: D1CB0031 04049B31
	v_fma_f32 v50, v50, s77, v1                                // 000000007A50: D1CB0032 04049B32
	v_fma_f32 v51, v51, s77, v1                                // 000000007A58: D1CB0033 04049B33
	v_mul_f32_e32 v48, v48, v156                               // 000000007A60: 0A613930
	v_mul_f32_e32 v49, v49, v157                               // 000000007A64: 0A633B31
	v_mul_f32_e32 v50, v50, v158                               // 000000007A68: 0A653D32
	v_mul_f32_e32 v51, v51, v159                               // 000000007A6C: 0A673F33
	v_mul_f32_e64 v48, v48, s6                                 // 000000007A70: D1050030 00000D30
	v_mul_f32_e64 v49, v49, s6                                 // 000000007A78: D1050031 00000D31
	v_mul_f32_e64 v50, v50, s6                                 // 000000007A80: D1050032 00000D32
	v_mul_f32_e64 v51, v51, s6                                 // 000000007A88: D1050033 00000D33
	v_exp_f32_e32 v48, v48                                     // 000000007A90: 7E604130
	v_exp_f32_e32 v49, v49                                     // 000000007A94: 7E624131
	v_exp_f32_e32 v50, v50                                     // 000000007A98: 7E644132
	v_exp_f32_e32 v51, v51                                     // 000000007A9C: 7E664133
	buffer_load_dwordx4 a[60:63], v42, s[12:15], 0 offen       // 000000007AA0: E05C1000 80833C2A
	s_add_u32 s12, s78, s12                                    // 000000007AA8: 800C0C4E
	s_addc_u32 s13, 0, s13                                     // 000000007AAC: 820D0D80
	v_add_f32_e64 v48, v48, 1.0                                // 000000007AB0: D1010030 0001E530
	v_add_f32_e64 v49, v49, 1.0                                // 000000007AB8: D1010031 0001E531
	v_add_f32_e64 v50, v50, 1.0                                // 000000007AC0: D1010032 0001E532
	v_add_f32_e64 v51, v51, 1.0                                // 000000007AC8: D1010033 0001E533
	v_rcp_f32_e32 v48, v48                                     // 000000007AD0: 7E604530
	v_rcp_f32_e32 v49, v49                                     // 000000007AD4: 7E624531
	v_rcp_f32_e32 v50, v50                                     // 000000007AD8: 7E644532
	v_rcp_f32_e32 v51, v51                                     // 000000007ADC: 7E664533
	v_mul_f32_e32 v156, v156, v48                              // 000000007AE0: 0B38619C
	v_mul_f32_e32 v157, v157, v49                              // 000000007AE4: 0B3A639D
	v_mul_f32_e32 v158, v158, v50                              // 000000007AE8: 0B3C659E
	v_mul_f32_e32 v159, v159, v51                              // 000000007AEC: 0B3E679F
	s_waitcnt vmcnt(16)                                        // 000000007AF0: BF8C4F70
	buffer_load_dwordx4 a[64:67], v39, s[12:15], 0 offen       // 000000007AF4: E05C1000 80834027
	v_mul_f32_e32 v48, v160, v160                              // 000000007AFC: 0A6141A0
	v_mul_f32_e32 v49, v161, v161                              // 000000007B00: 0A6343A1
	v_mul_f32_e32 v50, v162, v162                              // 000000007B04: 0A6545A2
	v_mul_f32_e32 v51, v163, v163                              // 000000007B08: 0A6747A3
	v_fma_f32 v48, v48, s77, v1                                // 000000007B0C: D1CB0030 04049B30
	v_fma_f32 v49, v49, s77, v1                                // 000000007B14: D1CB0031 04049B31
	v_fma_f32 v50, v50, s77, v1                                // 000000007B1C: D1CB0032 04049B32
	v_fma_f32 v51, v51, s77, v1                                // 000000007B24: D1CB0033 04049B33
	v_mul_f32_e32 v48, v48, v160                               // 000000007B2C: 0A614130
	v_mul_f32_e32 v49, v49, v161                               // 000000007B30: 0A634331
	v_mul_f32_e32 v50, v50, v162                               // 000000007B34: 0A654532
	v_mul_f32_e32 v51, v51, v163                               // 000000007B38: 0A674733
	v_mul_f32_e64 v48, v48, s6                                 // 000000007B3C: D1050030 00000D30
	v_mul_f32_e64 v49, v49, s6                                 // 000000007B44: D1050031 00000D31
	v_mul_f32_e64 v50, v50, s6                                 // 000000007B4C: D1050032 00000D32
	v_mul_f32_e64 v51, v51, s6                                 // 000000007B54: D1050033 00000D33
	v_exp_f32_e32 v48, v48                                     // 000000007B5C: 7E604130
	v_exp_f32_e32 v49, v49                                     // 000000007B60: 7E624131
	v_exp_f32_e32 v50, v50                                     // 000000007B64: 7E644132
	v_exp_f32_e32 v51, v51                                     // 000000007B68: 7E664133
	buffer_load_dwordx4 a[68:71], v40, s[12:15], 0 offen       // 000000007B6C: E05C1000 80834428
	v_add_f32_e64 v48, v48, 1.0                                // 000000007B74: D1010030 0001E530
	v_add_f32_e64 v49, v49, 1.0                                // 000000007B7C: D1010031 0001E531
	v_add_f32_e64 v50, v50, 1.0                                // 000000007B84: D1010032 0001E532
	v_add_f32_e64 v51, v51, 1.0                                // 000000007B8C: D1010033 0001E533
	v_rcp_f32_e32 v48, v48                                     // 000000007B94: 7E604530
	v_rcp_f32_e32 v49, v49                                     // 000000007B98: 7E624531
	v_rcp_f32_e32 v50, v50                                     // 000000007B9C: 7E644532
	v_rcp_f32_e32 v51, v51                                     // 000000007BA0: 7E664533
	v_mul_f32_e32 v160, v160, v48                              // 000000007BA4: 0B4061A0
	v_mul_f32_e32 v161, v161, v49                              // 000000007BA8: 0B4263A1
	v_mul_f32_e32 v162, v162, v50                              // 000000007BAC: 0B4465A2
	v_mul_f32_e32 v163, v163, v51                              // 000000007BB0: 0B4667A3
	buffer_load_dwordx4 a[72:75], v41, s[12:15], 0 offen       // 000000007BB4: E05C1000 80834829
	v_mul_f32_e32 v48, v164, v164                              // 000000007BBC: 0A6149A4
	v_mul_f32_e32 v49, v165, v165                              // 000000007BC0: 0A634BA5
	v_mul_f32_e32 v50, v166, v166                              // 000000007BC4: 0A654DA6
	v_mul_f32_e32 v51, v167, v167                              // 000000007BC8: 0A674FA7
	v_fma_f32 v48, v48, s77, v1                                // 000000007BCC: D1CB0030 04049B30
	v_fma_f32 v49, v49, s77, v1                                // 000000007BD4: D1CB0031 04049B31
	v_fma_f32 v50, v50, s77, v1                                // 000000007BDC: D1CB0032 04049B32
	v_fma_f32 v51, v51, s77, v1                                // 000000007BE4: D1CB0033 04049B33
	v_mul_f32_e32 v48, v48, v164                               // 000000007BEC: 0A614930
	v_mul_f32_e32 v49, v49, v165                               // 000000007BF0: 0A634B31
	v_mul_f32_e32 v50, v50, v166                               // 000000007BF4: 0A654D32
	v_mul_f32_e32 v51, v51, v167                               // 000000007BF8: 0A674F33
	v_mul_f32_e64 v48, v48, s6                                 // 000000007BFC: D1050030 00000D30
	v_mul_f32_e64 v49, v49, s6                                 // 000000007C04: D1050031 00000D31
	v_mul_f32_e64 v50, v50, s6                                 // 000000007C0C: D1050032 00000D32
	v_mul_f32_e64 v51, v51, s6                                 // 000000007C14: D1050033 00000D33
	v_exp_f32_e32 v48, v48                                     // 000000007C1C: 7E604130
	v_exp_f32_e32 v49, v49                                     // 000000007C20: 7E624131
	v_exp_f32_e32 v50, v50                                     // 000000007C24: 7E644132
	v_exp_f32_e32 v51, v51                                     // 000000007C28: 7E664133
	buffer_load_dwordx4 a[76:79], v42, s[12:15], 0 offen       // 000000007C2C: E05C1000 80834C2A
	v_add_f32_e64 v48, v48, 1.0                                // 000000007C34: D1010030 0001E530
	v_add_f32_e64 v49, v49, 1.0                                // 000000007C3C: D1010031 0001E531
	v_add_f32_e64 v50, v50, 1.0                                // 000000007C44: D1010032 0001E532
	v_add_f32_e64 v51, v51, 1.0                                // 000000007C4C: D1010033 0001E533
	v_rcp_f32_e32 v48, v48                                     // 000000007C54: 7E604530
	v_rcp_f32_e32 v49, v49                                     // 000000007C58: 7E624531
	v_rcp_f32_e32 v50, v50                                     // 000000007C5C: 7E644532
	v_rcp_f32_e32 v51, v51                                     // 000000007C60: 7E664533
	v_mul_f32_e32 v164, v164, v48                              // 000000007C64: 0B4861A4
	v_mul_f32_e32 v165, v165, v49                              // 000000007C68: 0B4A63A5
	v_mul_f32_e32 v166, v166, v50                              // 000000007C6C: 0B4C65A6
	v_mul_f32_e32 v167, v167, v51                              // 000000007C70: 0B4E67A7
	v_mul_f32_dpp v128, v18, v128 row_newbcast:0 row_mask:0xf bank_mask:0xf// 000000007C74: 0B0100FA FF015012
	v_mul_f32_dpp v129, v18, v129 row_newbcast:1 row_mask:0xf bank_mask:0xf// 000000007C7C: 0B0302FA FF015112
	v_mul_f32_dpp v130, v18, v130 row_newbcast:2 row_mask:0xf bank_mask:0xf// 000000007C84: 0B0504FA FF015212
	v_mul_f32_dpp v131, v18, v131 row_newbcast:3 row_mask:0xf bank_mask:0xf// 000000007C8C: 0B0706FA FF015312
	v_mul_f32_dpp v132, v18, v132 row_newbcast:0 row_mask:0xf bank_mask:0xf// 000000007C94: 0B0908FA FF015012
	v_mul_f32_dpp v133, v18, v133 row_newbcast:1 row_mask:0xf bank_mask:0xf// 000000007C9C: 0B0B0AFA FF015112
	v_mul_f32_dpp v134, v18, v134 row_newbcast:2 row_mask:0xf bank_mask:0xf// 000000007CA4: 0B0D0CFA FF015212
	v_mul_f32_dpp v135, v18, v135 row_newbcast:3 row_mask:0xf bank_mask:0xf// 000000007CAC: 0B0F0EFA FF015312
	v_mul_f32_dpp v136, v18, v136 row_newbcast:4 row_mask:0xf bank_mask:0xf// 000000007CB4: 0B1110FA FF015412
	v_mul_f32_dpp v137, v18, v137 row_newbcast:5 row_mask:0xf bank_mask:0xf// 000000007CBC: 0B1312FA FF015512
	v_mul_f32_dpp v138, v18, v138 row_newbcast:6 row_mask:0xf bank_mask:0xf// 000000007CC4: 0B1514FA FF015612
	v_mul_f32_dpp v139, v18, v139 row_newbcast:7 row_mask:0xf bank_mask:0xf// 000000007CCC: 0B1716FA FF015712
	v_mul_f32_dpp v140, v18, v140 row_newbcast:4 row_mask:0xf bank_mask:0xf// 000000007CD4: 0B1918FA FF015412
	v_mul_f32_dpp v141, v18, v141 row_newbcast:5 row_mask:0xf bank_mask:0xf// 000000007CDC: 0B1B1AFA FF015512
	v_mul_f32_dpp v142, v18, v142 row_newbcast:6 row_mask:0xf bank_mask:0xf// 000000007CE4: 0B1D1CFA FF015612
	v_mul_f32_dpp v143, v18, v143 row_newbcast:7 row_mask:0xf bank_mask:0xf// 000000007CEC: 0B1F1EFA FF015712
	v_mul_f32_dpp v144, v18, v144 row_newbcast:8 row_mask:0xf bank_mask:0xf// 000000007CF4: 0B2120FA FF015812
	v_mul_f32_dpp v145, v18, v145 row_newbcast:9 row_mask:0xf bank_mask:0xf// 000000007CFC: 0B2322FA FF015912
	v_mul_f32_dpp v146, v18, v146 row_newbcast:10 row_mask:0xf bank_mask:0xf// 000000007D04: 0B2524FA FF015A12
	v_mul_f32_dpp v147, v18, v147 row_newbcast:11 row_mask:0xf bank_mask:0xf// 000000007D0C: 0B2726FA FF015B12
	v_mul_f32_dpp v148, v18, v148 row_newbcast:8 row_mask:0xf bank_mask:0xf// 000000007D14: 0B2928FA FF015812
	v_mul_f32_dpp v149, v18, v149 row_newbcast:9 row_mask:0xf bank_mask:0xf// 000000007D1C: 0B2B2AFA FF015912
	v_mul_f32_dpp v150, v18, v150 row_newbcast:10 row_mask:0xf bank_mask:0xf// 000000007D24: 0B2D2CFA FF015A12
	v_mul_f32_dpp v151, v18, v151 row_newbcast:11 row_mask:0xf bank_mask:0xf// 000000007D2C: 0B2F2EFA FF015B12
	v_mul_f32_dpp v152, v18, v152 row_newbcast:12 row_mask:0xf bank_mask:0xf// 000000007D34: 0B3130FA FF015C12
	v_mul_f32_dpp v153, v18, v153 row_newbcast:13 row_mask:0xf bank_mask:0xf// 000000007D3C: 0B3332FA FF015D12
	v_mul_f32_dpp v154, v18, v154 row_newbcast:14 row_mask:0xf bank_mask:0xf// 000000007D44: 0B3534FA FF015E12
	v_mul_f32_dpp v155, v18, v155 row_newbcast:15 row_mask:0xf bank_mask:0xf// 000000007D4C: 0B3736FA FF015F12
	v_mul_f32_dpp v156, v18, v156 row_newbcast:12 row_mask:0xf bank_mask:0xf// 000000007D54: 0B3938FA FF015C12
	v_mul_f32_dpp v157, v18, v157 row_newbcast:13 row_mask:0xf bank_mask:0xf// 000000007D5C: 0B3B3AFA FF015D12
	v_mul_f32_dpp v158, v18, v158 row_newbcast:14 row_mask:0xf bank_mask:0xf// 000000007D64: 0B3D3CFA FF015E12
	v_mul_f32_dpp v159, v18, v159 row_newbcast:15 row_mask:0xf bank_mask:0xf// 000000007D6C: 0B3F3EFA FF015F12
	v_mul_f32_dpp v160, v19, v160 row_newbcast:0 row_mask:0xf bank_mask:0xf// 000000007D74: 0B4140FA FF015013
	v_mul_f32_dpp v161, v19, v161 row_newbcast:1 row_mask:0xf bank_mask:0xf// 000000007D7C: 0B4342FA FF015113
	v_mul_f32_dpp v162, v19, v162 row_newbcast:2 row_mask:0xf bank_mask:0xf// 000000007D84: 0B4544FA FF015213
	v_mul_f32_dpp v163, v19, v163 row_newbcast:3 row_mask:0xf bank_mask:0xf// 000000007D8C: 0B4746FA FF015313
	v_mul_f32_dpp v164, v19, v164 row_newbcast:0 row_mask:0xf bank_mask:0xf// 000000007D94: 0B4948FA FF015013
	v_mul_f32_dpp v165, v19, v165 row_newbcast:1 row_mask:0xf bank_mask:0xf// 000000007D9C: 0B4B4AFA FF015113
	v_mul_f32_dpp v166, v19, v166 row_newbcast:2 row_mask:0xf bank_mask:0xf// 000000007DA4: 0B4D4CFA FF015213
	v_mul_f32_dpp v167, v19, v167 row_newbcast:3 row_mask:0xf bank_mask:0xf// 000000007DAC: 0B4F4EFA FF015313
	buffer_load_dword v12, v5, s[16:19], 0 offen               // 000000007DB4: E0501000 80040C05
	v_mov_b32_e32 v22, 0x358637bd                              // 000000007DBC: 7E2C02FF 358637BD
	v_mov_b32_e32 v23, 0x358637bd                              // 000000007DC4: 7E2E02FF 358637BD
	v_max3_f32 v22, |v128|, |v129|, v22                        // 000000007DCC: D1D30316 045B0380
	v_max3_f32 v22, |v130|, |v131|, v22                        // 000000007DD4: D1D30316 045B0782
	v_max3_f32 v23, |v132|, |v133|, v23                        // 000000007DDC: D1D30317 045F0B84
	v_max3_f32 v23, |v134|, |v135|, v23                        // 000000007DE4: D1D30317 045F0F86
	v_max3_f32 v22, |v136|, |v137|, v22                        // 000000007DEC: D1D30316 045B1388
	v_max3_f32 v22, |v138|, |v139|, v22                        // 000000007DF4: D1D30316 045B178A
	v_max3_f32 v23, |v140|, |v141|, v23                        // 000000007DFC: D1D30317 045F1B8C
	v_max3_f32 v23, |v142|, |v143|, v23                        // 000000007E04: D1D30317 045F1F8E
	v_max3_f32 v22, |v144|, |v145|, v22                        // 000000007E0C: D1D30316 045B2390
	v_max3_f32 v22, |v146|, |v147|, v22                        // 000000007E14: D1D30316 045B2792
	v_max3_f32 v23, |v148|, |v149|, v23                        // 000000007E1C: D1D30317 045F2B94
	v_max3_f32 v23, |v150|, |v151|, v23                        // 000000007E24: D1D30317 045F2F96
	v_max3_f32 v22, |v152|, |v153|, v22                        // 000000007E2C: D1D30316 045B3398
	v_max3_f32 v22, |v154|, |v155|, v22                        // 000000007E34: D1D30316 045B379A
	v_max3_f32 v23, |v156|, |v157|, v23                        // 000000007E3C: D1D30317 045F3B9C
	v_max3_f32 v23, |v158|, |v159|, v23                        // 000000007E44: D1D30317 045F3F9E
	v_max3_f32 v22, |v160|, |v161|, v22                        // 000000007E4C: D1D30316 045B43A0
	v_max3_f32 v22, |v162|, |v163|, v22                        // 000000007E54: D1D30316 045B47A2
	v_max3_f32 v23, |v164|, |v165|, v23                        // 000000007E5C: D1D30317 045F4BA4
	v_max3_f32 v23, |v166|, |v167|, v23                        // 000000007E64: D1D30317 045F4FA6
	v_lshlrev_b32_e32 v48, 3, v0                               // 000000007E6C: 24600083
	s_mul_i32 s60, 0x200, s7                                   // 000000007E70: 923C07FF 00000200
	v_add_u32_e32 v48, s60, v48                                // 000000007E78: 6860603C
	ds_write_b64 v48, v[22:23] offset:16640                    // 000000007E7C: D89A4100 00001630
	s_waitcnt lgkmcnt(0)                                       // 000000007E84: BF8CC07F
	s_barrier                                                  // 000000007E88: BF8A0000
	v_and_b32_e32 v48, 15, v0                                  // 000000007E8C: 2660008F
	v_lshlrev_b32_e32 v48, 3, v48                              // 000000007E90: 24606083
	ds_read_b64 v[96:97], v48 offset:16640                     // 000000007E94: D8EC4100 60000030
	ds_read_b64 v[98:99], v48 offset:16768                     // 000000007E9C: D8EC4180 62000030
	ds_read_b64 v[100:101], v48 offset:16896                   // 000000007EA4: D8EC4200 64000030
	ds_read_b64 v[102:103], v48 offset:17024                   // 000000007EAC: D8EC4280 66000030
	ds_read_b64 v[104:105], v48 offset:17152                   // 000000007EB4: D8EC4300 68000030
	ds_read_b64 v[106:107], v48 offset:17280                   // 000000007EBC: D8EC4380 6A000030
	ds_read_b64 v[108:109], v48 offset:17408                   // 000000007EC4: D8EC4400 6C000030
	ds_read_b64 v[110:111], v48 offset:17536                   // 000000007ECC: D8EC4480 6E000030
	ds_read_b64 v[112:113], v48 offset:17664                   // 000000007ED4: D8EC4500 70000030
	ds_read_b64 v[114:115], v48 offset:17792                   // 000000007EDC: D8EC4580 72000030
	ds_read_b64 v[116:117], v48 offset:17920                   // 000000007EE4: D8EC4600 74000030
	ds_read_b64 v[118:119], v48 offset:18048                   // 000000007EEC: D8EC4680 76000030
	ds_read_b64 v[120:121], v48 offset:18176                   // 000000007EF4: D8EC4700 78000030
	ds_read_b64 v[122:123], v48 offset:18304                   // 000000007EFC: D8EC4780 7A000030
	ds_read_b64 v[124:125], v48 offset:18432                   // 000000007F04: D8EC4800 7C000030
	ds_read_b64 v[126:127], v48 offset:18560                   // 000000007F0C: D8EC4880 7E000030
	s_waitcnt lgkmcnt(0)                                       // 000000007F14: BF8CC07F
	v_max3_f32 v22, |v96|, |v98|, v22                          // 000000007F18: D1D30316 045AC560
	v_max3_f32 v23, |v97|, |v99|, v23                          // 000000007F20: D1D30317 045EC761
	v_max3_f32 v22, |v100|, |v102|, v22                        // 000000007F28: D1D30316 045ACD64
	v_max3_f32 v23, |v101|, |v103|, v23                        // 000000007F30: D1D30317 045ECF65
	v_max3_f32 v22, |v104|, |v106|, v22                        // 000000007F38: D1D30316 045AD568
	v_max3_f32 v23, |v105|, |v107|, v23                        // 000000007F40: D1D30317 045ED769
	v_max3_f32 v22, |v108|, |v110|, v22                        // 000000007F48: D1D30316 045ADD6C
	v_max3_f32 v23, |v109|, |v111|, v23                        // 000000007F50: D1D30317 045EDF6D
	v_max3_f32 v22, |v112|, |v114|, v22                        // 000000007F58: D1D30316 045AE570
	v_max3_f32 v23, |v113|, |v115|, v23                        // 000000007F60: D1D30317 045EE771
	v_max3_f32 v22, |v116|, |v118|, v22                        // 000000007F68: D1D30316 045AED74
	v_max3_f32 v23, |v117|, |v119|, v23                        // 000000007F70: D1D30317 045EEF75
	v_max3_f32 v22, |v120|, |v122|, v22                        // 000000007F78: D1D30316 045AF578
	v_max3_f32 v23, |v121|, |v123|, v23                        // 000000007F80: D1D30317 045EF779
	v_max3_f32 v22, |v124|, |v126|, v22                        // 000000007F88: D1D30316 045AFD7C
	v_max3_f32 v23, |v125|, |v127|, v23                        // 000000007F90: D1D30317 045EFF7D
	v_rcp_f32_e32 v22, v22                                     // 000000007F98: 7E2C4516
	v_rcp_f32_e32 v23, v23                                     // 000000007F9C: 7E2E4517
	v_mul_f32_e32 v22, 0x42fe0000, v22                         // 000000007FA0: 0A2C2CFF 42FE0000
	v_mul_f32_e32 v23, 0x42fe0000, v23                         // 000000007FA8: 0A2E2EFF 42FE0000
	v_mul_f32_e32 v128, v22, v128                              // 000000007FB0: 0B010116
	v_mul_f32_e32 v129, v22, v129                              // 000000007FB4: 0B030316
	v_mul_f32_e32 v130, v22, v130                              // 000000007FB8: 0B050516
	v_mul_f32_e32 v131, v22, v131                              // 000000007FBC: 0B070716
	v_cvt_i32_f32_e32 v128, v128                               // 000000007FC0: 7F001180
	v_cvt_i32_f32_e32 v129, v129                               // 000000007FC4: 7F021181
	v_cvt_i32_f32_e32 v130, v130                               // 000000007FC8: 7F041182
	v_cvt_i32_f32_e32 v131, v131                               // 000000007FCC: 7F061183
	v_perm_b32 v128, v129, v128, s53                           // 000000007FD0: D1ED0080 00D70181
	v_perm_b32 v128, v130, v128, s54                           // 000000007FD8: D1ED0080 00DB0182
	v_perm_b32 v128, v131, v128, s55                           // 000000007FE0: D1ED0080 00DF0183
	v_mul_f32_e32 v132, v23, v132                              // 000000007FE8: 0B090917
	v_mul_f32_e32 v133, v23, v133                              // 000000007FEC: 0B0B0B17
	v_mul_f32_e32 v134, v23, v134                              // 000000007FF0: 0B0D0D17
	v_mul_f32_e32 v135, v23, v135                              // 000000007FF4: 0B0F0F17
	v_cvt_i32_f32_e32 v132, v132                               // 000000007FF8: 7F081184
	v_cvt_i32_f32_e32 v133, v133                               // 000000007FFC: 7F0A1185
	v_cvt_i32_f32_e32 v134, v134                               // 000000008000: 7F0C1186
	v_cvt_i32_f32_e32 v135, v135                               // 000000008004: 7F0E1187
	v_perm_b32 v129, v133, v132, s53                           // 000000008008: D1ED0081 00D70985
	v_perm_b32 v129, v134, v129, s54                           // 000000008010: D1ED0081 00DB0386
	v_perm_b32 v129, v135, v129, s55                           // 000000008018: D1ED0081 00DF0387
	v_mul_f32_e32 v136, v22, v136                              // 000000008020: 0B111116
	v_mul_f32_e32 v137, v22, v137                              // 000000008024: 0B131316
	v_mul_f32_e32 v138, v22, v138                              // 000000008028: 0B151516
	v_mul_f32_e32 v139, v22, v139                              // 00000000802C: 0B171716
	v_cvt_i32_f32_e32 v136, v136                               // 000000008030: 7F101188
	v_cvt_i32_f32_e32 v137, v137                               // 000000008034: 7F121189
	v_cvt_i32_f32_e32 v138, v138                               // 000000008038: 7F14118A
	v_cvt_i32_f32_e32 v139, v139                               // 00000000803C: 7F16118B
	v_perm_b32 v130, v137, v136, s53                           // 000000008040: D1ED0082 00D71189
	v_perm_b32 v130, v138, v130, s54                           // 000000008048: D1ED0082 00DB058A
	v_perm_b32 v130, v139, v130, s55                           // 000000008050: D1ED0082 00DF058B
	v_mul_f32_e32 v140, v23, v140                              // 000000008058: 0B191917
	v_mul_f32_e32 v141, v23, v141                              // 00000000805C: 0B1B1B17
	v_mul_f32_e32 v142, v23, v142                              // 000000008060: 0B1D1D17
	v_mul_f32_e32 v143, v23, v143                              // 000000008064: 0B1F1F17
	v_cvt_i32_f32_e32 v140, v140                               // 000000008068: 7F18118C
	v_cvt_i32_f32_e32 v141, v141                               // 00000000806C: 7F1A118D
	v_cvt_i32_f32_e32 v142, v142                               // 000000008070: 7F1C118E
	v_cvt_i32_f32_e32 v143, v143                               // 000000008074: 7F1E118F
	v_perm_b32 v131, v141, v140, s53                           // 000000008078: D1ED0083 00D7198D
	v_perm_b32 v131, v142, v131, s54                           // 000000008080: D1ED0083 00DB078E
	v_perm_b32 v131, v143, v131, s55                           // 000000008088: D1ED0083 00DF078F
	v_mul_f32_e32 v144, v22, v144                              // 000000008090: 0B212116
	v_mul_f32_e32 v145, v22, v145                              // 000000008094: 0B232316
	v_mul_f32_e32 v146, v22, v146                              // 000000008098: 0B252516
	v_mul_f32_e32 v147, v22, v147                              // 00000000809C: 0B272716
	v_cvt_i32_f32_e32 v144, v144                               // 0000000080A0: 7F201190
	v_cvt_i32_f32_e32 v145, v145                               // 0000000080A4: 7F221191
	v_cvt_i32_f32_e32 v146, v146                               // 0000000080A8: 7F241192
	v_cvt_i32_f32_e32 v147, v147                               // 0000000080AC: 7F261193
	v_perm_b32 v132, v145, v144, s53                           // 0000000080B0: D1ED0084 00D72191
	v_perm_b32 v132, v146, v132, s54                           // 0000000080B8: D1ED0084 00DB0992
	v_perm_b32 v132, v147, v132, s55                           // 0000000080C0: D1ED0084 00DF0993
	v_mul_f32_e32 v148, v23, v148                              // 0000000080C8: 0B292917
	v_mul_f32_e32 v149, v23, v149                              // 0000000080CC: 0B2B2B17
	v_mul_f32_e32 v150, v23, v150                              // 0000000080D0: 0B2D2D17
	v_mul_f32_e32 v151, v23, v151                              // 0000000080D4: 0B2F2F17
	v_cvt_i32_f32_e32 v148, v148                               // 0000000080D8: 7F281194
	v_cvt_i32_f32_e32 v149, v149                               // 0000000080DC: 7F2A1195
	v_cvt_i32_f32_e32 v150, v150                               // 0000000080E0: 7F2C1196
	v_cvt_i32_f32_e32 v151, v151                               // 0000000080E4: 7F2E1197
	v_perm_b32 v133, v149, v148, s53                           // 0000000080E8: D1ED0085 00D72995
	v_perm_b32 v133, v150, v133, s54                           // 0000000080F0: D1ED0085 00DB0B96
	v_perm_b32 v133, v151, v133, s55                           // 0000000080F8: D1ED0085 00DF0B97
	v_mul_f32_e32 v152, v22, v152                              // 000000008100: 0B313116
	v_mul_f32_e32 v153, v22, v153                              // 000000008104: 0B333316
	v_mul_f32_e32 v154, v22, v154                              // 000000008108: 0B353516
	v_mul_f32_e32 v155, v22, v155                              // 00000000810C: 0B373716
	v_cvt_i32_f32_e32 v152, v152                               // 000000008110: 7F301198
	v_cvt_i32_f32_e32 v153, v153                               // 000000008114: 7F321199
	v_cvt_i32_f32_e32 v154, v154                               // 000000008118: 7F34119A
	v_cvt_i32_f32_e32 v155, v155                               // 00000000811C: 7F36119B
	v_perm_b32 v134, v153, v152, s53                           // 000000008120: D1ED0086 00D73199
	v_perm_b32 v134, v154, v134, s54                           // 000000008128: D1ED0086 00DB0D9A
	v_perm_b32 v134, v155, v134, s55                           // 000000008130: D1ED0086 00DF0D9B
	v_mul_f32_e32 v156, v23, v156                              // 000000008138: 0B393917
	v_mul_f32_e32 v157, v23, v157                              // 00000000813C: 0B3B3B17
	v_mul_f32_e32 v158, v23, v158                              // 000000008140: 0B3D3D17
	v_mul_f32_e32 v159, v23, v159                              // 000000008144: 0B3F3F17
	v_cvt_i32_f32_e32 v156, v156                               // 000000008148: 7F38119C
	v_cvt_i32_f32_e32 v157, v157                               // 00000000814C: 7F3A119D
	v_cvt_i32_f32_e32 v158, v158                               // 000000008150: 7F3C119E
	v_cvt_i32_f32_e32 v159, v159                               // 000000008154: 7F3E119F
	v_perm_b32 v135, v157, v156, s53                           // 000000008158: D1ED0087 00D7399D
	v_perm_b32 v135, v158, v135, s54                           // 000000008160: D1ED0087 00DB0F9E
	v_perm_b32 v135, v159, v135, s55                           // 000000008168: D1ED0087 00DF0F9F
	v_mul_f32_e32 v160, v22, v160                              // 000000008170: 0B414116
	v_mul_f32_e32 v161, v22, v161                              // 000000008174: 0B434316
	v_mul_f32_e32 v162, v22, v162                              // 000000008178: 0B454516
	v_mul_f32_e32 v163, v22, v163                              // 00000000817C: 0B474716
	v_cvt_i32_f32_e32 v160, v160                               // 000000008180: 7F4011A0
	v_cvt_i32_f32_e32 v161, v161                               // 000000008184: 7F4211A1
	v_cvt_i32_f32_e32 v162, v162                               // 000000008188: 7F4411A2
	v_cvt_i32_f32_e32 v163, v163                               // 00000000818C: 7F4611A3
	v_perm_b32 v136, v161, v160, s53                           // 000000008190: D1ED0088 00D741A1
	v_perm_b32 v136, v162, v136, s54                           // 000000008198: D1ED0088 00DB11A2
	v_perm_b32 v136, v163, v136, s55                           // 0000000081A0: D1ED0088 00DF11A3
	v_mul_f32_e32 v164, v23, v164                              // 0000000081A8: 0B494917
	v_mul_f32_e32 v165, v23, v165                              // 0000000081AC: 0B4B4B17
	v_mul_f32_e32 v166, v23, v166                              // 0000000081B0: 0B4D4D17
	v_mul_f32_e32 v167, v23, v167                              // 0000000081B4: 0B4F4F17
	v_cvt_i32_f32_e32 v164, v164                               // 0000000081B8: 7F4811A4
	v_cvt_i32_f32_e32 v165, v165                               // 0000000081BC: 7F4A11A5
	v_cvt_i32_f32_e32 v166, v166                               // 0000000081C0: 7F4C11A6
	v_cvt_i32_f32_e32 v167, v167                               // 0000000081C4: 7F4E11A7
	v_perm_b32 v137, v165, v164, s53                           // 0000000081C8: D1ED0089 00D749A5
	v_perm_b32 v137, v166, v137, s54                           // 0000000081D0: D1ED0089 00DB13A6
	v_perm_b32 v137, v167, v137, s55                           // 0000000081D8: D1ED0089 00DF13A7
	v_rcp_f32_e32 v24, v22                                     // 0000000081E0: 7E304516
	v_rcp_f32_e32 v25, v23                                     // 0000000081E4: 7E324517
	v_lshrrev_b32_e32 v48, 5, v0                               // 0000000081E8: 20600085
	v_lshlrev_b32_e32 v49, 5, v48                              // 0000000081EC: 24626085
	v_and_b32_e32 v48, 31, v0                                  // 0000000081F0: 2660009F
	v_lshrrev_b32_e32 v50, 4, v48                              // 0000000081F4: 20646084
	v_add_u32_e32 v49, v50, v49                                // 0000000081F8: 68626332
	v_and_b32_e32 v48, 15, v0                                  // 0000000081FC: 2660008F
	v_lshlrev_b32_e32 v48, 1, v48                              // 000000008200: 24606081
	v_add_u32_e32 v49, v48, v49                                // 000000008204: 68626330
	v_lshlrev_b32_e32 v48, 2, v49                              // 000000008208: 24606282
	s_mul_i32 s60, 0x100, s7                                   // 00000000820C: 923C07FF 00000100
	v_add_u32_e64 v48, v48, s60                                // 000000008214: D1340030 00007930
	ds_write_b32 v48, v128 offset:18688                        // 00000000821C: D81A4900 00008030
	ds_write_b32 v48, v129 offset:23808                        // 000000008224: D81A5D00 00008130
	ds_write_b32 v48, v130 offset:19712                        // 00000000822C: D81A4D00 00008230
	ds_write_b32 v48, v131 offset:24832                        // 000000008234: D81A6100 00008330
	ds_write_b32 v48, v132 offset:20736                        // 00000000823C: D81A5100 00008430
	ds_write_b32 v48, v133 offset:25856                        // 000000008244: D81A6500 00008530
	ds_write_b32 v48, v134 offset:21760                        // 00000000824C: D81A5500 00008630
	ds_write_b32 v48, v135 offset:26880                        // 000000008254: D81A6900 00008730
	ds_write_b32 v48, v136 offset:22784                        // 00000000825C: D81A5900 00008830
	ds_write_b32 v48, v137 offset:27904                        // 000000008264: D81A6D00 00008930
	s_waitcnt lgkmcnt(0)                                       // 00000000826C: BF8CC07F
	s_barrier                                                  // 000000008270: BF8A0000
	v_lshrrev_b32_e32 v48, 4, v0                               // 000000008274: 20600084
	v_lshlrev_b32_e32 v49, 6, v48                              // 000000008278: 24626086
	v_and_b32_e32 v48, 15, v0                                  // 00000000827C: 2660008F
	v_lshlrev_b32_e32 v48, 1, v48                              // 000000008280: 24606081
	v_add_u32_e32 v49, v48, v49                                // 000000008284: 68626330
	v_lshlrev_b32_e32 v48, 2, v49                              // 000000008288: 24606282
	ds_read_b64 v[128:129], v48 offset:18688                   // 00000000828C: D8EC4900 80000030
	ds_read_b64 v[130:131], v48 offset:18816                   // 000000008294: D8EC4980 82000030
	ds_read_b64 v[132:133], v48 offset:19712                   // 00000000829C: D8EC4D00 84000030
	ds_read_b64 v[134:135], v48 offset:19840                   // 0000000082A4: D8EC4D80 86000030
	ds_read_b64 v[136:137], v48 offset:20736                   // 0000000082AC: D8EC5100 88000030
	ds_read_b64 v[138:139], v48 offset:20864                   // 0000000082B4: D8EC5180 8A000030
	ds_read_b64 v[140:141], v48 offset:21760                   // 0000000082BC: D8EC5500 8C000030
	ds_read_b64 v[142:143], v48 offset:21888                   // 0000000082C4: D8EC5580 8E000030
	ds_read_b64 v[144:145], v48 offset:22784                   // 0000000082CC: D8EC5900 90000030
	ds_read_b64 v[146:147], v48 offset:22912                   // 0000000082D4: D8EC5980 92000030
	ds_read_b64 v[148:149], v48 offset:23808                   // 0000000082DC: D8EC5D00 94000030
	ds_read_b64 v[150:151], v48 offset:23936                   // 0000000082E4: D8EC5D80 96000030
	ds_read_b64 v[152:153], v48 offset:24832                   // 0000000082EC: D8EC6100 98000030
	ds_read_b64 v[154:155], v48 offset:24960                   // 0000000082F4: D8EC6180 9A000030
	ds_read_b64 v[156:157], v48 offset:25856                   // 0000000082FC: D8EC6500 9C000030
	ds_read_b64 v[158:159], v48 offset:25984                   // 000000008304: D8EC6580 9E000030
	ds_read_b64 v[160:161], v48 offset:26880                   // 00000000830C: D8EC6900 A0000030
	ds_read_b64 v[162:163], v48 offset:27008                   // 000000008314: D8EC6980 A2000030
	ds_read_b64 v[164:165], v48 offset:27904                   // 00000000831C: D8EC6D00 A4000030
	ds_read_b64 v[166:167], v48 offset:28032                   // 000000008324: D8EC6D80 A6000030
	s_add_u32 s12, s56, s12                                    // 00000000832C: 800C0C38
	s_addc_u32 s13, 0, s13                                     // 000000008330: 820D0D80
	s_add_u32 s16, s79, s16                                    // 000000008334: 8010104F
	s_addc_u32 s17, 0, s17                                     // 000000008338: 82111180
	s_mov_b32 s80, 0                                           // 00000000833C: BED00080
	s_waitcnt vmcnt(0) expcnt(0) lgkmcnt(0)                    // 000000008340: BF8C0000

0000000000008344 <label_1551>:
	s_waitcnt vmcnt(33)                                        // 000000008344: BF8C8F71
	s_barrier                                                  // 000000008348: BF8A0000
	v_mfma_i32_16x16x32_i8 v[168:171], a[0:1], v[128:129], 0   // 00000000834C: D3D700A8 0A030100
	buffer_load_dwordx4 a[80:83], v39, s[12:15], 0 offen       // 000000008354: E05C1000 80835027
	v_mfma_i32_16x16x32_i8 v[168:171], a[2:3], v[130:131], v[168:171]// 00000000835C: D3D700A8 0EA30502
	v_mfma_i32_16x16x32_i8 v[172:175], a[0:1], v[148:149], 0   // 000000008364: D3D700AC 0A032900
	v_mfma_i32_16x16x32_i8 v[172:175], a[2:3], v[150:151], v[172:175]// 00000000836C: D3D700AC 0EB32D02
	v_mfma_i32_16x16x32_i8 v[176:179], a[4:5], v[128:129], 0   // 000000008374: D3D700B0 0A030104
	buffer_load_dwordx4 a[84:87], v40, s[12:15], 0 offen       // 00000000837C: E05C1000 80835428
	v_mfma_i32_16x16x32_i8 v[176:179], a[6:7], v[130:131], v[176:179]// 000000008384: D3D700B0 0EC30506
	v_mfma_i32_16x16x32_i8 v[180:183], a[4:5], v[148:149], 0   // 00000000838C: D3D700B4 0A032904
	v_mfma_i32_16x16x32_i8 v[180:183], a[6:7], v[150:151], v[180:183]// 000000008394: D3D700B4 0ED32D06
	v_mfma_i32_16x16x32_i8 v[184:187], a[8:9], v[128:129], 0   // 00000000839C: D3D700B8 0A030108
	buffer_load_dwordx4 a[88:91], v41, s[12:15], 0 offen       // 0000000083A4: E05C1000 80835829
	v_mfma_i32_16x16x32_i8 v[184:187], a[10:11], v[130:131], v[184:187]// 0000000083AC: D3D700B8 0EE3050A
	v_mfma_i32_16x16x32_i8 v[188:191], a[8:9], v[148:149], 0   // 0000000083B4: D3D700BC 0A032908
	v_mfma_i32_16x16x32_i8 v[188:191], a[10:11], v[150:151], v[188:191]// 0000000083BC: D3D700BC 0EF32D0A
	v_mfma_i32_16x16x32_i8 v[192:195], a[12:13], v[128:129], 0 // 0000000083C4: D3D700C0 0A03010C
	buffer_load_dwordx4 a[92:95], v42, s[12:15], 0 offen       // 0000000083CC: E05C1000 80835C2A
	s_add_u32 s12, s78, s12                                    // 0000000083D4: 800C0C4E
	s_addc_u32 s13, 0, s13                                     // 0000000083D8: 820D0D80
	v_mfma_i32_16x16x32_i8 v[192:195], a[14:15], v[130:131], v[192:195]// 0000000083DC: D3D700C0 0F03050E
	v_mfma_i32_16x16x32_i8 v[196:199], a[12:13], v[148:149], 0 // 0000000083E4: D3D700C4 0A03290C
	v_mfma_i32_16x16x32_i8 v[196:199], a[14:15], v[150:151], v[196:199]// 0000000083EC: D3D700C4 0F132D0E
	s_waitcnt vmcnt(33)                                        // 0000000083F4: BF8C8F71
	v_mfma_i32_16x16x32_i8 v[168:171], a[16:17], v[132:133], v[168:171]// 0000000083F8: D3D700A8 0EA30910
	buffer_load_dwordx4 a[96:99], v39, s[12:15], 0 offen       // 000000008400: E05C1000 80836027
	v_mfma_i32_16x16x32_i8 v[168:171], a[18:19], v[134:135], v[168:171]// 000000008408: D3D700A8 0EA30D12
	v_mfma_i32_16x16x32_i8 v[172:175], a[16:17], v[152:153], v[172:175]// 000000008410: D3D700AC 0EB33110
	v_mfma_i32_16x16x32_i8 v[172:175], a[18:19], v[154:155], v[172:175]// 000000008418: D3D700AC 0EB33512
	v_mfma_i32_16x16x32_i8 v[176:179], a[20:21], v[132:133], v[176:179]// 000000008420: D3D700B0 0EC30914
	buffer_load_dwordx4 a[100:103], v40, s[12:15], 0 offen     // 000000008428: E05C1000 80836428
	v_mfma_i32_16x16x32_i8 v[176:179], a[22:23], v[134:135], v[176:179]// 000000008430: D3D700B0 0EC30D16
	v_mfma_i32_16x16x32_i8 v[180:183], a[20:21], v[152:153], v[180:183]// 000000008438: D3D700B4 0ED33114
	v_mfma_i32_16x16x32_i8 v[180:183], a[22:23], v[154:155], v[180:183]// 000000008440: D3D700B4 0ED33516
	v_mfma_i32_16x16x32_i8 v[184:187], a[24:25], v[132:133], v[184:187]// 000000008448: D3D700B8 0EE30918
	buffer_load_dwordx4 a[104:107], v41, s[12:15], 0 offen     // 000000008450: E05C1000 80836829
	v_mfma_i32_16x16x32_i8 v[184:187], a[26:27], v[134:135], v[184:187]// 000000008458: D3D700B8 0EE30D1A
	v_mfma_i32_16x16x32_i8 v[188:191], a[24:25], v[152:153], v[188:191]// 000000008460: D3D700BC 0EF33118
	v_mfma_i32_16x16x32_i8 v[188:191], a[26:27], v[154:155], v[188:191]// 000000008468: D3D700BC 0EF3351A
	v_mfma_i32_16x16x32_i8 v[192:195], a[28:29], v[132:133], v[192:195]// 000000008470: D3D700C0 0F03091C
	buffer_load_dwordx4 a[108:111], v42, s[12:15], 0 offen     // 000000008478: E05C1000 80836C2A
	s_add_u32 s12, s78, s12                                    // 000000008480: 800C0C4E
	s_addc_u32 s13, 0, s13                                     // 000000008484: 820D0D80
	v_mfma_i32_16x16x32_i8 v[192:195], a[30:31], v[134:135], v[192:195]// 000000008488: D3D700C0 0F030D1E
	v_mfma_i32_16x16x32_i8 v[196:199], a[28:29], v[152:153], v[196:199]// 000000008490: D3D700C4 0F13311C
	v_mfma_i32_16x16x32_i8 v[196:199], a[30:31], v[154:155], v[196:199]// 000000008498: D3D700C4 0F13351E
	s_waitcnt vmcnt(33)                                        // 0000000084A0: BF8C8F71
	v_mfma_i32_16x16x32_i8 v[168:171], a[32:33], v[136:137], v[168:171]// 0000000084A4: D3D700A8 0EA31120
	buffer_load_dwordx4 a[112:115], v39, s[12:15], 0 offen     // 0000000084AC: E05C1000 80837027
	v_mfma_i32_16x16x32_i8 v[168:171], a[34:35], v[138:139], v[168:171]// 0000000084B4: D3D700A8 0EA31522
	v_mfma_i32_16x16x32_i8 v[172:175], a[32:33], v[156:157], v[172:175]// 0000000084BC: D3D700AC 0EB33920
	v_mfma_i32_16x16x32_i8 v[172:175], a[34:35], v[158:159], v[172:175]// 0000000084C4: D3D700AC 0EB33D22
	v_mfma_i32_16x16x32_i8 v[176:179], a[36:37], v[136:137], v[176:179]// 0000000084CC: D3D700B0 0EC31124
	buffer_load_dwordx4 a[116:119], v40, s[12:15], 0 offen     // 0000000084D4: E05C1000 80837428
	v_mfma_i32_16x16x32_i8 v[176:179], a[38:39], v[138:139], v[176:179]// 0000000084DC: D3D700B0 0EC31526
	v_mfma_i32_16x16x32_i8 v[180:183], a[36:37], v[156:157], v[180:183]// 0000000084E4: D3D700B4 0ED33924
	v_mfma_i32_16x16x32_i8 v[180:183], a[38:39], v[158:159], v[180:183]// 0000000084EC: D3D700B4 0ED33D26
	v_mfma_i32_16x16x32_i8 v[184:187], a[40:41], v[136:137], v[184:187]// 0000000084F4: D3D700B8 0EE31128
	buffer_load_dwordx4 a[120:123], v41, s[12:15], 0 offen     // 0000000084FC: E05C1000 80837829
	v_mfma_i32_16x16x32_i8 v[184:187], a[42:43], v[138:139], v[184:187]// 000000008504: D3D700B8 0EE3152A
	v_mfma_i32_16x16x32_i8 v[188:191], a[40:41], v[156:157], v[188:191]// 00000000850C: D3D700BC 0EF33928
	v_mfma_i32_16x16x32_i8 v[188:191], a[42:43], v[158:159], v[188:191]// 000000008514: D3D700BC 0EF33D2A
	v_mfma_i32_16x16x32_i8 v[192:195], a[44:45], v[136:137], v[192:195]// 00000000851C: D3D700C0 0F03112C
	buffer_load_dwordx4 a[124:127], v42, s[12:15], 0 offen     // 000000008524: E05C1000 80837C2A
	s_add_u32 s12, s78, s12                                    // 00000000852C: 800C0C4E
	s_addc_u32 s13, 0, s13                                     // 000000008530: 820D0D80
	v_mfma_i32_16x16x32_i8 v[192:195], a[46:47], v[138:139], v[192:195]// 000000008534: D3D700C0 0F03152E
	v_mfma_i32_16x16x32_i8 v[196:199], a[44:45], v[156:157], v[196:199]// 00000000853C: D3D700C4 0F13392C
	v_mfma_i32_16x16x32_i8 v[196:199], a[46:47], v[158:159], v[196:199]// 000000008544: D3D700C4 0F133D2E
	s_waitcnt vmcnt(33)                                        // 00000000854C: BF8C8F71
	v_mfma_i32_16x16x32_i8 v[168:171], a[48:49], v[140:141], v[168:171]// 000000008550: D3D700A8 0EA31930
	buffer_load_dwordx4 a[128:131], v39, s[12:15], 0 offen     // 000000008558: E05C1000 80838027
	v_mfma_i32_16x16x32_i8 v[168:171], a[50:51], v[142:143], v[168:171]// 000000008560: D3D700A8 0EA31D32
	v_mfma_i32_16x16x32_i8 v[172:175], a[48:49], v[160:161], v[172:175]// 000000008568: D3D700AC 0EB34130
	v_mfma_i32_16x16x32_i8 v[172:175], a[50:51], v[162:163], v[172:175]// 000000008570: D3D700AC 0EB34532
	v_mfma_i32_16x16x32_i8 v[176:179], a[52:53], v[140:141], v[176:179]// 000000008578: D3D700B0 0EC31934
	buffer_load_dwordx4 a[132:135], v40, s[12:15], 0 offen     // 000000008580: E05C1000 80838428
	v_mfma_i32_16x16x32_i8 v[176:179], a[54:55], v[142:143], v[176:179]// 000000008588: D3D700B0 0EC31D36
	v_mfma_i32_16x16x32_i8 v[180:183], a[52:53], v[160:161], v[180:183]// 000000008590: D3D700B4 0ED34134
	v_mfma_i32_16x16x32_i8 v[180:183], a[54:55], v[162:163], v[180:183]// 000000008598: D3D700B4 0ED34536
	v_mfma_i32_16x16x32_i8 v[184:187], a[56:57], v[140:141], v[184:187]// 0000000085A0: D3D700B8 0EE31938
	buffer_load_dwordx4 a[136:139], v41, s[12:15], 0 offen     // 0000000085A8: E05C1000 80838829
	v_mfma_i32_16x16x32_i8 v[184:187], a[58:59], v[142:143], v[184:187]// 0000000085B0: D3D700B8 0EE31D3A
	v_mfma_i32_16x16x32_i8 v[188:191], a[56:57], v[160:161], v[188:191]// 0000000085B8: D3D700BC 0EF34138
	v_mfma_i32_16x16x32_i8 v[188:191], a[58:59], v[162:163], v[188:191]// 0000000085C0: D3D700BC 0EF3453A
	v_mfma_i32_16x16x32_i8 v[192:195], a[60:61], v[140:141], v[192:195]// 0000000085C8: D3D700C0 0F03193C
	buffer_load_dwordx4 a[140:143], v42, s[12:15], 0 offen     // 0000000085D0: E05C1000 80838C2A
	s_add_u32 s12, s78, s12                                    // 0000000085D8: 800C0C4E
	s_addc_u32 s13, 0, s13                                     // 0000000085DC: 820D0D80
	v_mfma_i32_16x16x32_i8 v[192:195], a[62:63], v[142:143], v[192:195]// 0000000085E0: D3D700C0 0F031D3E
	v_mfma_i32_16x16x32_i8 v[196:199], a[60:61], v[160:161], v[196:199]// 0000000085E8: D3D700C4 0F13413C
	v_mfma_i32_16x16x32_i8 v[196:199], a[62:63], v[162:163], v[196:199]// 0000000085F0: D3D700C4 0F13453E
	s_waitcnt vmcnt(32)                                        // 0000000085F8: BF8C8F70
	v_mfma_i32_16x16x32_i8 v[168:171], a[64:65], v[144:145], v[168:171]// 0000000085FC: D3D700A8 0EA32140
	buffer_load_dwordx4 a[144:147], v39, s[12:15], 0 offen     // 000000008604: E05C1000 80839027
	v_mfma_i32_16x16x32_i8 v[168:171], a[66:67], v[146:147], v[168:171]// 00000000860C: D3D700A8 0EA32542
	v_mfma_i32_16x16x32_i8 v[172:175], a[64:65], v[164:165], v[172:175]// 000000008614: D3D700AC 0EB34940
	buffer_load_dword v13, v5, s[16:19], 0 offen               // 00000000861C: E0501000 80040D05
	v_mfma_i32_16x16x32_i8 v[172:175], a[66:67], v[166:167], v[172:175]// 000000008624: D3D700AC 0EB34D42
	v_mfma_i32_16x16x32_i8 v[176:179], a[68:69], v[144:145], v[176:179]// 00000000862C: D3D700B0 0EC32144
	buffer_load_dwordx4 a[148:151], v40, s[12:15], 0 offen     // 000000008634: E05C1000 80839428
	v_mfma_i32_16x16x32_i8 v[176:179], a[70:71], v[146:147], v[176:179]// 00000000863C: D3D700B0 0EC32546
	v_mfma_i32_16x16x32_i8 v[180:183], a[68:69], v[164:165], v[180:183]// 000000008644: D3D700B4 0ED34944
	v_mfma_i32_16x16x32_i8 v[180:183], a[70:71], v[166:167], v[180:183]// 00000000864C: D3D700B4 0ED34D46
	v_mfma_i32_16x16x32_i8 v[184:187], a[72:73], v[144:145], v[184:187]// 000000008654: D3D700B8 0EE32148
	buffer_load_dwordx4 a[152:155], v41, s[12:15], 0 offen     // 00000000865C: E05C1000 80839829
	v_mfma_i32_16x16x32_i8 v[184:187], a[74:75], v[146:147], v[184:187]// 000000008664: D3D700B8 0EE3254A
	v_mfma_i32_16x16x32_i8 v[188:191], a[72:73], v[164:165], v[188:191]// 00000000866C: D3D700BC 0EF34948
	v_mfma_i32_16x16x32_i8 v[188:191], a[74:75], v[166:167], v[188:191]// 000000008674: D3D700BC 0EF34D4A
	v_mfma_i32_16x16x32_i8 v[192:195], a[76:77], v[144:145], v[192:195]// 00000000867C: D3D700C0 0F03214C
	buffer_load_dwordx4 a[156:159], v42, s[12:15], 0 offen     // 000000008684: E05C1000 80839C2A
	v_mfma_i32_16x16x32_i8 v[192:195], a[78:79], v[146:147], v[192:195]// 00000000868C: D3D700C0 0F03254E
	v_mfma_i32_16x16x32_i8 v[196:199], a[76:77], v[164:165], v[196:199]// 000000008694: D3D700C4 0F13494C
	v_mfma_i32_16x16x32_i8 v[196:199], a[78:79], v[166:167], v[196:199]// 00000000869C: D3D700C4 0F134D4E
	s_add_u32 s60, 0x200, s80                                  // 0000000086A4: 803C50FF 00000200
	s_cmp_lt_u32 s60, s81                                      // 0000000086AC: BF0A513C
	s_cselect_b32 s56, s56, 0                                  // 0000000086B0: 85388038
	s_cselect_b32 s78, s78, 0                                  // 0000000086B4: 854E804E
	s_cselect_b32 s79, s79, 0                                  // 0000000086B8: 854F804F
	s_add_u32 s12, s56, s12                                    // 0000000086BC: 800C0C38
	s_addc_u32 s13, 0, s13                                     // 0000000086C0: 820D0D80
	s_add_u32 s16, s79, s16                                    // 0000000086C4: 8010104F
	s_addc_u32 s17, 0, s17                                     // 0000000086C8: 82111180
	v_cvt_f32_i32_e32 v168, v168                               // 0000000086CC: 7F500BA8
	v_cvt_f32_i32_e32 v169, v169                               // 0000000086D0: 7F520BA9
	v_cvt_f32_i32_e32 v170, v170                               // 0000000086D4: 7F540BAA
	v_cvt_f32_i32_e32 v171, v171                               // 0000000086D8: 7F560BAB
	v_mul_f32_e32 v168, v24, v168                              // 0000000086DC: 0B515118
	v_mul_f32_e32 v169, v24, v169                              // 0000000086E0: 0B535318
	v_mul_f32_e32 v170, v24, v170                              // 0000000086E4: 0B555518
	v_mul_f32_e32 v171, v24, v171                              // 0000000086E8: 0B575718
	v_mul_f32_dpp v168, v12, v168 row_newbcast:0 row_mask:0xf bank_mask:0xf// 0000000086EC: 0B5150FA FF01500C
	v_mul_f32_dpp v169, v12, v169 row_newbcast:1 row_mask:0xf bank_mask:0xf// 0000000086F4: 0B5352FA FF01510C
	v_mul_f32_dpp v170, v12, v170 row_newbcast:2 row_mask:0xf bank_mask:0xf// 0000000086FC: 0B5554FA FF01520C
	v_mul_f32_dpp v171, v12, v171 row_newbcast:3 row_mask:0xf bank_mask:0xf// 000000008704: 0B5756FA FF01530C
	v_mul_f32_e32 v168, v20, v168                              // 00000000870C: 0B515114
	v_mul_f32_e32 v169, v20, v169                              // 000000008710: 0B535314
	v_mul_f32_e32 v170, v20, v170                              // 000000008714: 0B555514
	v_mul_f32_e32 v171, v20, v171                              // 000000008718: 0B575714
	v_cvt_f32_i32_e32 v172, v172                               // 00000000871C: 7F580BAC
	v_cvt_f32_i32_e32 v173, v173                               // 000000008720: 7F5A0BAD
	v_cvt_f32_i32_e32 v174, v174                               // 000000008724: 7F5C0BAE
	v_cvt_f32_i32_e32 v175, v175                               // 000000008728: 7F5E0BAF
	v_mul_f32_e32 v172, v25, v172                              // 00000000872C: 0B595919
	v_mul_f32_e32 v173, v25, v173                              // 000000008730: 0B5B5B19
	v_mul_f32_e32 v174, v25, v174                              // 000000008734: 0B5D5D19
	v_mul_f32_e32 v175, v25, v175                              // 000000008738: 0B5F5F19
	v_mul_f32_dpp v172, v12, v172 row_newbcast:0 row_mask:0xf bank_mask:0xf// 00000000873C: 0B5958FA FF01500C
	v_mul_f32_dpp v173, v12, v173 row_newbcast:1 row_mask:0xf bank_mask:0xf// 000000008744: 0B5B5AFA FF01510C
	v_mul_f32_dpp v174, v12, v174 row_newbcast:2 row_mask:0xf bank_mask:0xf// 00000000874C: 0B5D5CFA FF01520C
	v_mul_f32_dpp v175, v12, v175 row_newbcast:3 row_mask:0xf bank_mask:0xf// 000000008754: 0B5F5EFA FF01530C
	v_mul_f32_e32 v172, v21, v172                              // 00000000875C: 0B595915
	v_mul_f32_e32 v173, v21, v173                              // 000000008760: 0B5B5B15
	v_mul_f32_e32 v174, v21, v174                              // 000000008764: 0B5D5D15
	v_mul_f32_e32 v175, v21, v175                              // 000000008768: 0B5F5F15
	v_cvt_f32_i32_e32 v176, v176                               // 00000000876C: 7F600BB0
	v_cvt_f32_i32_e32 v177, v177                               // 000000008770: 7F620BB1
	v_cvt_f32_i32_e32 v178, v178                               // 000000008774: 7F640BB2
	v_cvt_f32_i32_e32 v179, v179                               // 000000008778: 7F660BB3
	v_mul_f32_e32 v176, v24, v176                              // 00000000877C: 0B616118
	v_mul_f32_e32 v177, v24, v177                              // 000000008780: 0B636318
	v_mul_f32_e32 v178, v24, v178                              // 000000008784: 0B656518
	v_mul_f32_e32 v179, v24, v179                              // 000000008788: 0B676718
	v_mul_f32_dpp v176, v12, v176 row_newbcast:4 row_mask:0xf bank_mask:0xf// 00000000878C: 0B6160FA FF01540C
	v_mul_f32_dpp v177, v12, v177 row_newbcast:5 row_mask:0xf bank_mask:0xf// 000000008794: 0B6362FA FF01550C
	v_mul_f32_dpp v178, v12, v178 row_newbcast:6 row_mask:0xf bank_mask:0xf// 00000000879C: 0B6564FA FF01560C
	v_mul_f32_dpp v179, v12, v179 row_newbcast:7 row_mask:0xf bank_mask:0xf// 0000000087A4: 0B6766FA FF01570C
	v_mul_f32_e32 v176, v20, v176                              // 0000000087AC: 0B616114
	v_mul_f32_e32 v177, v20, v177                              // 0000000087B0: 0B636314
	v_mul_f32_e32 v178, v20, v178                              // 0000000087B4: 0B656514
	v_mul_f32_e32 v179, v20, v179                              // 0000000087B8: 0B676714
	v_cvt_f32_i32_e32 v180, v180                               // 0000000087BC: 7F680BB4
	v_cvt_f32_i32_e32 v181, v181                               // 0000000087C0: 7F6A0BB5
	v_cvt_f32_i32_e32 v182, v182                               // 0000000087C4: 7F6C0BB6
	v_cvt_f32_i32_e32 v183, v183                               // 0000000087C8: 7F6E0BB7
	v_mul_f32_e32 v180, v25, v180                              // 0000000087CC: 0B696919
	v_mul_f32_e32 v181, v25, v181                              // 0000000087D0: 0B6B6B19
	v_mul_f32_e32 v182, v25, v182                              // 0000000087D4: 0B6D6D19
	v_mul_f32_e32 v183, v25, v183                              // 0000000087D8: 0B6F6F19
	v_mul_f32_dpp v180, v12, v180 row_newbcast:4 row_mask:0xf bank_mask:0xf// 0000000087DC: 0B6968FA FF01540C
	v_mul_f32_dpp v181, v12, v181 row_newbcast:5 row_mask:0xf bank_mask:0xf// 0000000087E4: 0B6B6AFA FF01550C
	v_mul_f32_dpp v182, v12, v182 row_newbcast:6 row_mask:0xf bank_mask:0xf// 0000000087EC: 0B6D6CFA FF01560C
	v_mul_f32_dpp v183, v12, v183 row_newbcast:7 row_mask:0xf bank_mask:0xf// 0000000087F4: 0B6F6EFA FF01570C
	v_mul_f32_e32 v180, v21, v180                              // 0000000087FC: 0B696915
	v_mul_f32_e32 v181, v21, v181                              // 000000008800: 0B6B6B15
	v_mul_f32_e32 v182, v21, v182                              // 000000008804: 0B6D6D15
	v_mul_f32_e32 v183, v21, v183                              // 000000008808: 0B6F6F15
	v_cvt_f32_i32_e32 v184, v184                               // 00000000880C: 7F700BB8
	v_cvt_f32_i32_e32 v185, v185                               // 000000008810: 7F720BB9
	v_cvt_f32_i32_e32 v186, v186                               // 000000008814: 7F740BBA
	v_cvt_f32_i32_e32 v187, v187                               // 000000008818: 7F760BBB
	v_mul_f32_e32 v184, v24, v184                              // 00000000881C: 0B717118
	v_mul_f32_e32 v185, v24, v185                              // 000000008820: 0B737318
	v_mul_f32_e32 v186, v24, v186                              // 000000008824: 0B757518
	v_mul_f32_e32 v187, v24, v187                              // 000000008828: 0B777718
	v_mul_f32_dpp v184, v12, v184 row_newbcast:8 row_mask:0xf bank_mask:0xf// 00000000882C: 0B7170FA FF01580C
	v_mul_f32_dpp v185, v12, v185 row_newbcast:9 row_mask:0xf bank_mask:0xf// 000000008834: 0B7372FA FF01590C
	v_mul_f32_dpp v186, v12, v186 row_newbcast:10 row_mask:0xf bank_mask:0xf// 00000000883C: 0B7574FA FF015A0C
	v_mul_f32_dpp v187, v12, v187 row_newbcast:11 row_mask:0xf bank_mask:0xf// 000000008844: 0B7776FA FF015B0C
	v_mul_f32_e32 v184, v20, v184                              // 00000000884C: 0B717114
	v_mul_f32_e32 v185, v20, v185                              // 000000008850: 0B737314
	v_mul_f32_e32 v186, v20, v186                              // 000000008854: 0B757514
	v_mul_f32_e32 v187, v20, v187                              // 000000008858: 0B777714
	v_cvt_f32_i32_e32 v188, v188                               // 00000000885C: 7F780BBC
	v_cvt_f32_i32_e32 v189, v189                               // 000000008860: 7F7A0BBD
	v_cvt_f32_i32_e32 v190, v190                               // 000000008864: 7F7C0BBE
	v_cvt_f32_i32_e32 v191, v191                               // 000000008868: 7F7E0BBF
	v_mul_f32_e32 v188, v25, v188                              // 00000000886C: 0B797919
	v_mul_f32_e32 v189, v25, v189                              // 000000008870: 0B7B7B19
	v_mul_f32_e32 v190, v25, v190                              // 000000008874: 0B7D7D19
	v_mul_f32_e32 v191, v25, v191                              // 000000008878: 0B7F7F19
	v_mul_f32_dpp v188, v12, v188 row_newbcast:8 row_mask:0xf bank_mask:0xf// 00000000887C: 0B7978FA FF01580C
	v_mul_f32_dpp v189, v12, v189 row_newbcast:9 row_mask:0xf bank_mask:0xf// 000000008884: 0B7B7AFA FF01590C
	v_mul_f32_dpp v190, v12, v190 row_newbcast:10 row_mask:0xf bank_mask:0xf// 00000000888C: 0B7D7CFA FF015A0C
	v_mul_f32_dpp v191, v12, v191 row_newbcast:11 row_mask:0xf bank_mask:0xf// 000000008894: 0B7F7EFA FF015B0C
	v_mul_f32_e32 v188, v21, v188                              // 00000000889C: 0B797915
	v_mul_f32_e32 v189, v21, v189                              // 0000000088A0: 0B7B7B15
	v_mul_f32_e32 v190, v21, v190                              // 0000000088A4: 0B7D7D15
	v_mul_f32_e32 v191, v21, v191                              // 0000000088A8: 0B7F7F15
	v_cvt_f32_i32_e32 v192, v192                               // 0000000088AC: 7F800BC0
	v_cvt_f32_i32_e32 v193, v193                               // 0000000088B0: 7F820BC1
	v_cvt_f32_i32_e32 v194, v194                               // 0000000088B4: 7F840BC2
	v_cvt_f32_i32_e32 v195, v195                               // 0000000088B8: 7F860BC3
	v_mul_f32_e32 v192, v24, v192                              // 0000000088BC: 0B818118
	v_mul_f32_e32 v193, v24, v193                              // 0000000088C0: 0B838318
	v_mul_f32_e32 v194, v24, v194                              // 0000000088C4: 0B858518
	v_mul_f32_e32 v195, v24, v195                              // 0000000088C8: 0B878718
	v_mul_f32_dpp v192, v12, v192 row_newbcast:12 row_mask:0xf bank_mask:0xf// 0000000088CC: 0B8180FA FF015C0C
	v_mul_f32_dpp v193, v12, v193 row_newbcast:13 row_mask:0xf bank_mask:0xf// 0000000088D4: 0B8382FA FF015D0C
	v_mul_f32_dpp v194, v12, v194 row_newbcast:14 row_mask:0xf bank_mask:0xf// 0000000088DC: 0B8584FA FF015E0C
	v_mul_f32_dpp v195, v12, v195 row_newbcast:15 row_mask:0xf bank_mask:0xf// 0000000088E4: 0B8786FA FF015F0C
	v_mul_f32_e32 v192, v20, v192                              // 0000000088EC: 0B818114
	v_mul_f32_e32 v193, v20, v193                              // 0000000088F0: 0B838314
	v_mul_f32_e32 v194, v20, v194                              // 0000000088F4: 0B858514
	v_mul_f32_e32 v195, v20, v195                              // 0000000088F8: 0B878714
	v_cvt_f32_i32_e32 v196, v196                               // 0000000088FC: 7F880BC4
	v_cvt_f32_i32_e32 v197, v197                               // 000000008900: 7F8A0BC5
	v_cvt_f32_i32_e32 v198, v198                               // 000000008904: 7F8C0BC6
	v_cvt_f32_i32_e32 v199, v199                               // 000000008908: 7F8E0BC7
	v_mul_f32_e32 v196, v25, v196                              // 00000000890C: 0B898919
	v_mul_f32_e32 v197, v25, v197                              // 000000008910: 0B8B8B19
	v_mul_f32_e32 v198, v25, v198                              // 000000008914: 0B8D8D19
	v_mul_f32_e32 v199, v25, v199                              // 000000008918: 0B8F8F19
	v_mul_f32_dpp v196, v12, v196 row_newbcast:12 row_mask:0xf bank_mask:0xf// 00000000891C: 0B8988FA FF015C0C
	v_mul_f32_dpp v197, v12, v197 row_newbcast:13 row_mask:0xf bank_mask:0xf// 000000008924: 0B8B8AFA FF015D0C
	v_mul_f32_dpp v198, v12, v198 row_newbcast:14 row_mask:0xf bank_mask:0xf// 00000000892C: 0B8D8CFA FF015E0C
	v_mul_f32_dpp v199, v12, v199 row_newbcast:15 row_mask:0xf bank_mask:0xf// 000000008934: 0B8F8EFA FF015F0C
	v_mul_f32_e32 v196, v21, v196                              // 00000000893C: 0B898915
	v_mul_f32_e32 v197, v21, v197                              // 000000008940: 0B8B8B15
	v_mul_f32_e32 v198, v21, v198                              // 000000008944: 0B8D8D15
	v_mul_f32_e32 v199, v21, v199                              // 000000008948: 0B8F8F15
	v_cmp_u_f32_e64 s[48:49], v168, v168                       // 00000000894C: D0480030 000351A8
	v_add3_u32 v43, v168, v46, 1                               // 000000008954: D1FF002B 02065DA8
	v_cndmask_b32_e64 v48, v43, v45, s[48:49]                  // 00000000895C: D1000030 00C25B2B
	v_cmp_u_f32_e64 s[48:49], v169, v169                       // 000000008964: D0480030 000353A9
	v_add3_u32 v43, v169, v46, 1                               // 00000000896C: D1FF002B 02065DA9
	v_cndmask_b32_e64 v49, v43, v45, s[48:49]                  // 000000008974: D1000031 00C25B2B
	v_perm_b32 v168, v49, v48, s52                             // 00000000897C: D1ED00A8 00D26131
	v_cmp_u_f32_e64 s[48:49], v170, v170                       // 000000008984: D0480030 000355AA
	v_add3_u32 v43, v170, v46, 1                               // 00000000898C: D1FF002B 02065DAA
	v_cndmask_b32_e64 v48, v43, v45, s[48:49]                  // 000000008994: D1000030 00C25B2B
	v_cmp_u_f32_e64 s[48:49], v171, v171                       // 00000000899C: D0480030 000357AB
	v_add3_u32 v43, v171, v46, 1                               // 0000000089A4: D1FF002B 02065DAB
	v_cndmask_b32_e64 v49, v43, v45, s[48:49]                  // 0000000089AC: D1000031 00C25B2B
	v_perm_b32 v169, v49, v48, s52                             // 0000000089B4: D1ED00A9 00D26131
	v_cmp_u_f32_e64 s[48:49], v172, v172                       // 0000000089BC: D0480030 000359AC
	v_add3_u32 v43, v172, v46, 1                               // 0000000089C4: D1FF002B 02065DAC
	v_cndmask_b32_e64 v48, v43, v45, s[48:49]                  // 0000000089CC: D1000030 00C25B2B
	v_cmp_u_f32_e64 s[48:49], v173, v173                       // 0000000089D4: D0480030 00035BAD
	v_add3_u32 v43, v173, v46, 1                               // 0000000089DC: D1FF002B 02065DAD
	v_cndmask_b32_e64 v49, v43, v45, s[48:49]                  // 0000000089E4: D1000031 00C25B2B
	v_perm_b32 v170, v49, v48, s52                             // 0000000089EC: D1ED00AA 00D26131
	v_cmp_u_f32_e64 s[48:49], v174, v174                       // 0000000089F4: D0480030 00035DAE
	v_add3_u32 v43, v174, v46, 1                               // 0000000089FC: D1FF002B 02065DAE
	v_cndmask_b32_e64 v48, v43, v45, s[48:49]                  // 000000008A04: D1000030 00C25B2B
	v_cmp_u_f32_e64 s[48:49], v175, v175                       // 000000008A0C: D0480030 00035FAF
	v_add3_u32 v43, v175, v46, 1                               // 000000008A14: D1FF002B 02065DAF
	v_cndmask_b32_e64 v49, v43, v45, s[48:49]                  // 000000008A1C: D1000031 00C25B2B
	v_perm_b32 v171, v49, v48, s52                             // 000000008A24: D1ED00AB 00D26131
	v_cmp_u_f32_e64 s[48:49], v176, v176                       // 000000008A2C: D0480030 000361B0
	v_add3_u32 v43, v176, v46, 1                               // 000000008A34: D1FF002B 02065DB0
	v_cndmask_b32_e64 v48, v43, v45, s[48:49]                  // 000000008A3C: D1000030 00C25B2B
	v_cmp_u_f32_e64 s[48:49], v177, v177                       // 000000008A44: D0480030 000363B1
	v_add3_u32 v43, v177, v46, 1                               // 000000008A4C: D1FF002B 02065DB1
	v_cndmask_b32_e64 v49, v43, v45, s[48:49]                  // 000000008A54: D1000031 00C25B2B
	v_perm_b32 v172, v49, v48, s52                             // 000000008A5C: D1ED00AC 00D26131
	v_cmp_u_f32_e64 s[48:49], v178, v178                       // 000000008A64: D0480030 000365B2
	v_add3_u32 v43, v178, v46, 1                               // 000000008A6C: D1FF002B 02065DB2
	v_cndmask_b32_e64 v48, v43, v45, s[48:49]                  // 000000008A74: D1000030 00C25B2B
	v_cmp_u_f32_e64 s[48:49], v179, v179                       // 000000008A7C: D0480030 000367B3
	v_add3_u32 v43, v179, v46, 1                               // 000000008A84: D1FF002B 02065DB3
	v_cndmask_b32_e64 v49, v43, v45, s[48:49]                  // 000000008A8C: D1000031 00C25B2B
	v_perm_b32 v173, v49, v48, s52                             // 000000008A94: D1ED00AD 00D26131
	v_cmp_u_f32_e64 s[48:49], v180, v180                       // 000000008A9C: D0480030 000369B4
	v_add3_u32 v43, v180, v46, 1                               // 000000008AA4: D1FF002B 02065DB4
	v_cndmask_b32_e64 v48, v43, v45, s[48:49]                  // 000000008AAC: D1000030 00C25B2B
	v_cmp_u_f32_e64 s[48:49], v181, v181                       // 000000008AB4: D0480030 00036BB5
	v_add3_u32 v43, v181, v46, 1                               // 000000008ABC: D1FF002B 02065DB5
	v_cndmask_b32_e64 v49, v43, v45, s[48:49]                  // 000000008AC4: D1000031 00C25B2B
	v_perm_b32 v174, v49, v48, s52                             // 000000008ACC: D1ED00AE 00D26131
	v_cmp_u_f32_e64 s[48:49], v182, v182                       // 000000008AD4: D0480030 00036DB6
	v_add3_u32 v43, v182, v46, 1                               // 000000008ADC: D1FF002B 02065DB6
	v_cndmask_b32_e64 v48, v43, v45, s[48:49]                  // 000000008AE4: D1000030 00C25B2B
	v_cmp_u_f32_e64 s[48:49], v183, v183                       // 000000008AEC: D0480030 00036FB7
	v_add3_u32 v43, v183, v46, 1                               // 000000008AF4: D1FF002B 02065DB7
	v_cndmask_b32_e64 v49, v43, v45, s[48:49]                  // 000000008AFC: D1000031 00C25B2B
	v_perm_b32 v175, v49, v48, s52                             // 000000008B04: D1ED00AF 00D26131
	v_cmp_u_f32_e64 s[48:49], v184, v184                       // 000000008B0C: D0480030 000371B8
	v_add3_u32 v43, v184, v46, 1                               // 000000008B14: D1FF002B 02065DB8
	v_cndmask_b32_e64 v48, v43, v45, s[48:49]                  // 000000008B1C: D1000030 00C25B2B
	v_cmp_u_f32_e64 s[48:49], v185, v185                       // 000000008B24: D0480030 000373B9
	v_add3_u32 v43, v185, v46, 1                               // 000000008B2C: D1FF002B 02065DB9
	v_cndmask_b32_e64 v49, v43, v45, s[48:49]                  // 000000008B34: D1000031 00C25B2B
	v_perm_b32 v176, v49, v48, s52                             // 000000008B3C: D1ED00B0 00D26131
	v_cmp_u_f32_e64 s[48:49], v186, v186                       // 000000008B44: D0480030 000375BA
	v_add3_u32 v43, v186, v46, 1                               // 000000008B4C: D1FF002B 02065DBA
	v_cndmask_b32_e64 v48, v43, v45, s[48:49]                  // 000000008B54: D1000030 00C25B2B
	v_cmp_u_f32_e64 s[48:49], v187, v187                       // 000000008B5C: D0480030 000377BB
	v_add3_u32 v43, v187, v46, 1                               // 000000008B64: D1FF002B 02065DBB
	v_cndmask_b32_e64 v49, v43, v45, s[48:49]                  // 000000008B6C: D1000031 00C25B2B
	v_perm_b32 v177, v49, v48, s52                             // 000000008B74: D1ED00B1 00D26131
	v_cmp_u_f32_e64 s[48:49], v188, v188                       // 000000008B7C: D0480030 000379BC
	v_add3_u32 v43, v188, v46, 1                               // 000000008B84: D1FF002B 02065DBC
	v_cndmask_b32_e64 v48, v43, v45, s[48:49]                  // 000000008B8C: D1000030 00C25B2B
	v_cmp_u_f32_e64 s[48:49], v189, v189                       // 000000008B94: D0480030 00037BBD
	v_add3_u32 v43, v189, v46, 1                               // 000000008B9C: D1FF002B 02065DBD
	v_cndmask_b32_e64 v49, v43, v45, s[48:49]                  // 000000008BA4: D1000031 00C25B2B
	v_perm_b32 v178, v49, v48, s52                             // 000000008BAC: D1ED00B2 00D26131
	v_cmp_u_f32_e64 s[48:49], v190, v190                       // 000000008BB4: D0480030 00037DBE
	v_add3_u32 v43, v190, v46, 1                               // 000000008BBC: D1FF002B 02065DBE
	v_cndmask_b32_e64 v48, v43, v45, s[48:49]                  // 000000008BC4: D1000030 00C25B2B
	v_cmp_u_f32_e64 s[48:49], v191, v191                       // 000000008BCC: D0480030 00037FBF
	v_add3_u32 v43, v191, v46, 1                               // 000000008BD4: D1FF002B 02065DBF
	v_cndmask_b32_e64 v49, v43, v45, s[48:49]                  // 000000008BDC: D1000031 00C25B2B
	v_perm_b32 v179, v49, v48, s52                             // 000000008BE4: D1ED00B3 00D26131
	v_cmp_u_f32_e64 s[48:49], v192, v192                       // 000000008BEC: D0480030 000381C0
	v_add3_u32 v43, v192, v46, 1                               // 000000008BF4: D1FF002B 02065DC0
	v_cndmask_b32_e64 v48, v43, v45, s[48:49]                  // 000000008BFC: D1000030 00C25B2B
	v_cmp_u_f32_e64 s[48:49], v193, v193                       // 000000008C04: D0480030 000383C1
	v_add3_u32 v43, v193, v46, 1                               // 000000008C0C: D1FF002B 02065DC1
	v_cndmask_b32_e64 v49, v43, v45, s[48:49]                  // 000000008C14: D1000031 00C25B2B
	v_perm_b32 v180, v49, v48, s52                             // 000000008C1C: D1ED00B4 00D26131
	v_cmp_u_f32_e64 s[48:49], v194, v194                       // 000000008C24: D0480030 000385C2
	v_add3_u32 v43, v194, v46, 1                               // 000000008C2C: D1FF002B 02065DC2
	v_cndmask_b32_e64 v48, v43, v45, s[48:49]                  // 000000008C34: D1000030 00C25B2B
	v_cmp_u_f32_e64 s[48:49], v195, v195                       // 000000008C3C: D0480030 000387C3
	v_add3_u32 v43, v195, v46, 1                               // 000000008C44: D1FF002B 02065DC3
	v_cndmask_b32_e64 v49, v43, v45, s[48:49]                  // 000000008C4C: D1000031 00C25B2B
	v_perm_b32 v181, v49, v48, s52                             // 000000008C54: D1ED00B5 00D26131
	v_cmp_u_f32_e64 s[48:49], v196, v196                       // 000000008C5C: D0480030 000389C4
	v_add3_u32 v43, v196, v46, 1                               // 000000008C64: D1FF002B 02065DC4
	v_cndmask_b32_e64 v48, v43, v45, s[48:49]                  // 000000008C6C: D1000030 00C25B2B
	v_cmp_u_f32_e64 s[48:49], v197, v197                       // 000000008C74: D0480030 00038BC5
	v_add3_u32 v43, v197, v46, 1                               // 000000008C7C: D1FF002B 02065DC5
	v_cndmask_b32_e64 v49, v43, v45, s[48:49]                  // 000000008C84: D1000031 00C25B2B
	v_perm_b32 v182, v49, v48, s52                             // 000000008C8C: D1ED00B6 00D26131
	v_cmp_u_f32_e64 s[48:49], v198, v198                       // 000000008C94: D0480030 00038DC6
	v_add3_u32 v43, v198, v46, 1                               // 000000008C9C: D1FF002B 02065DC6
	v_cndmask_b32_e64 v48, v43, v45, s[48:49]                  // 000000008CA4: D1000030 00C25B2B
	v_cmp_u_f32_e64 s[48:49], v199, v199                       // 000000008CAC: D0480030 00038FC7
	v_add3_u32 v43, v199, v46, 1                               // 000000008CB4: D1FF002B 02065DC7
	v_cndmask_b32_e64 v49, v43, v45, s[48:49]                  // 000000008CBC: D1000031 00C25B2B
	v_perm_b32 v183, v49, v48, s52                             // 000000008CC4: D1ED00B7 00D26131
	ds_write_b64 v3, v[168:169] offset:28928                   // 000000008CCC: D89A7100 0000A803
	ds_write_b64 v3, v[170:171] offset:37632                   // 000000008CD4: D89A9300 0000AA03
	ds_write_b64 v3, v[172:173] offset:31104                   // 000000008CDC: D89A7980 0000AC03
	ds_write_b64 v3, v[174:175] offset:39808                   // 000000008CE4: D89A9B80 0000AE03
	ds_write_b64 v3, v[176:177] offset:33280                   // 000000008CEC: D89A8200 0000B003
	ds_write_b64 v3, v[178:179] offset:41984                   // 000000008CF4: D89AA400 0000B203
	ds_write_b64 v3, v[180:181] offset:35456                   // 000000008CFC: D89A8A80 0000B403
	ds_write_b64 v3, v[182:183] offset:44160                   // 000000008D04: D89AAC80 0000B603
	s_waitcnt lgkmcnt(0)                                       // 000000008D0C: BF8CC07F
	s_barrier                                                  // 000000008D10: BF8A0000
	ds_read_b32 v64, v4 offset:28928                           // 000000008D14: D86C7100 40000004
	ds_read_b32 v65, v4 offset:33280                           // 000000008D1C: D86C8200 41000004
	ds_read_b32 v66, v4 offset:28960                           // 000000008D24: D86C7120 42000004
	ds_read_b32 v67, v4 offset:33312                           // 000000008D2C: D86C8220 43000004
	ds_read_b32 v68, v4 offset:28992                           // 000000008D34: D86C7140 44000004
	ds_read_b32 v69, v4 offset:33344                           // 000000008D3C: D86C8240 45000004
	ds_read_b32 v70, v4 offset:29024                           // 000000008D44: D86C7160 46000004
	ds_read_b32 v71, v4 offset:33376                           // 000000008D4C: D86C8260 47000004
	ds_read_b32 v72, v4 offset:37632                           // 000000008D54: D86C9300 48000004
	ds_read_b32 v73, v4 offset:41984                           // 000000008D5C: D86CA400 49000004
	ds_read_b32 v74, v4 offset:37664                           // 000000008D64: D86C9320 4A000004
	ds_read_b32 v75, v4 offset:42016                           // 000000008D6C: D86CA420 4B000004
	ds_read_b32 v76, v4 offset:37696                           // 000000008D74: D86C9340 4C000004
	ds_read_b32 v77, v4 offset:42048                           // 000000008D7C: D86CA440 4D000004
	ds_read_b32 v78, v4 offset:37728                           // 000000008D84: D86C9360 4E000004
	ds_read_b32 v79, v4 offset:42080                           // 000000008D8C: D86CA460 4F000004
	s_waitcnt lgkmcnt(0)                                       // 000000008D94: BF8CC07F
	s_mov_b64 exec, s[20:21]                                   // 000000008D98: BEFE0114
	global_atomic_pk_add_bf16 v80, v64, s[8:9]                 // 000000008D9C: DD488000 00084050
	s_mov_b64 exec, s[36:37]                                   // 000000008DA4: BEFE0124
	s_mov_b64 exec, s[20:21]                                   // 000000008DA8: BEFE0114
	global_atomic_pk_add_bf16 v80, v65, s[8:9] offset:256      // 000000008DAC: DD488100 00084150
	s_mov_b64 exec, s[36:37]                                   // 000000008DB4: BEFE0124
	s_mov_b64 exec, s[22:23]                                   // 000000008DB8: BEFE0116
	global_atomic_pk_add_bf16 v82, v66, s[8:9]                 // 000000008DBC: DD488000 00084252
	s_mov_b64 exec, s[36:37]                                   // 000000008DC4: BEFE0124
	s_mov_b64 exec, s[22:23]                                   // 000000008DC8: BEFE0116
	global_atomic_pk_add_bf16 v82, v67, s[8:9] offset:256      // 000000008DCC: DD488100 00084352
	s_mov_b64 exec, s[36:37]                                   // 000000008DD4: BEFE0124
	s_mov_b64 exec, s[24:25]                                   // 000000008DD8: BEFE0118
	global_atomic_pk_add_bf16 v84, v68, s[8:9]                 // 000000008DDC: DD488000 00084454
	s_mov_b64 exec, s[36:37]                                   // 000000008DE4: BEFE0124
	s_mov_b64 exec, s[24:25]                                   // 000000008DE8: BEFE0118
	global_atomic_pk_add_bf16 v84, v69, s[8:9] offset:256      // 000000008DEC: DD488100 00084554
	s_mov_b64 exec, s[36:37]                                   // 000000008DF4: BEFE0124
	s_mov_b64 exec, s[26:27]                                   // 000000008DF8: BEFE011A
	global_atomic_pk_add_bf16 v86, v70, s[8:9]                 // 000000008DFC: DD488000 00084656
	s_mov_b64 exec, s[36:37]                                   // 000000008E04: BEFE0124
	s_mov_b64 exec, s[26:27]                                   // 000000008E08: BEFE011A
	global_atomic_pk_add_bf16 v86, v71, s[8:9] offset:256      // 000000008E0C: DD488100 00084756
	s_mov_b64 exec, s[36:37]                                   // 000000008E14: BEFE0124
	s_mov_b64 exec, s[28:29]                                   // 000000008E18: BEFE011C
	global_atomic_pk_add_bf16 v88, v72, s[8:9]                 // 000000008E1C: DD488000 00084858
	s_mov_b64 exec, s[36:37]                                   // 000000008E24: BEFE0124
	s_mov_b64 exec, s[28:29]                                   // 000000008E28: BEFE011C
	global_atomic_pk_add_bf16 v88, v73, s[8:9] offset:256      // 000000008E2C: DD488100 00084958
	s_mov_b64 exec, s[36:37]                                   // 000000008E34: BEFE0124
	s_mov_b64 exec, s[30:31]                                   // 000000008E38: BEFE011E
	global_atomic_pk_add_bf16 v90, v74, s[8:9]                 // 000000008E3C: DD488000 00084A5A
	s_mov_b64 exec, s[36:37]                                   // 000000008E44: BEFE0124
	s_mov_b64 exec, s[30:31]                                   // 000000008E48: BEFE011E
	global_atomic_pk_add_bf16 v90, v75, s[8:9] offset:256      // 000000008E4C: DD488100 00084B5A
	s_mov_b64 exec, s[36:37]                                   // 000000008E54: BEFE0124
	s_mov_b64 exec, s[32:33]                                   // 000000008E58: BEFE0120
	global_atomic_pk_add_bf16 v92, v76, s[8:9]                 // 000000008E5C: DD488000 00084C5C
	s_mov_b64 exec, s[36:37]                                   // 000000008E64: BEFE0124
	s_mov_b64 exec, s[32:33]                                   // 000000008E68: BEFE0120
	global_atomic_pk_add_bf16 v92, v77, s[8:9] offset:256      // 000000008E6C: DD488100 00084D5C
	s_mov_b64 exec, s[36:37]                                   // 000000008E74: BEFE0124
	s_mov_b64 exec, s[34:35]                                   // 000000008E78: BEFE0122
	global_atomic_pk_add_bf16 v94, v78, s[8:9]                 // 000000008E7C: DD488000 00084E5E
	s_mov_b64 exec, s[36:37]                                   // 000000008E84: BEFE0124
	s_mov_b64 exec, s[34:35]                                   // 000000008E88: BEFE0122
	global_atomic_pk_add_bf16 v94, v79, s[8:9] offset:256      // 000000008E8C: DD488100 00084F5E
	s_mov_b64 exec, s[36:37]                                   // 000000008E94: BEFE0124
	s_add_u32 s8, s59, s8                                      // 000000008E98: 8008083B
	s_addc_u32 s9, 0, s9                                       // 000000008E9C: 82090980
	s_addk_i32 s80, 0x100                                      // 000000008EA0: B7500100
	s_cmp_lt_i32 s80, s81                                      // 000000008EA4: BF045150
	s_cbranch_scc0 label_0EE3                                  // 000000008EA8: BF84F6B8
	s_waitcnt vmcnt(33)                                        // 000000008EAC: BF8C8F71
	s_barrier                                                  // 000000008EB0: BF8A0000
	v_mfma_i32_16x16x32_i8 v[200:203], a[80:81], v[128:129], 0 // 000000008EB4: D3D700C8 0A030150
	buffer_load_dwordx4 a[0:3], v39, s[12:15], 0 offen         // 000000008EBC: E05C1000 80830027
	v_mfma_i32_16x16x32_i8 v[200:203], a[82:83], v[130:131], v[200:203]// 000000008EC4: D3D700C8 0F230552
	v_mfma_i32_16x16x32_i8 v[204:207], a[80:81], v[148:149], 0 // 000000008ECC: D3D700CC 0A032950
	v_mfma_i32_16x16x32_i8 v[204:207], a[82:83], v[150:151], v[204:207]// 000000008ED4: D3D700CC 0F332D52
	v_mfma_i32_16x16x32_i8 v[208:211], a[84:85], v[128:129], 0 // 000000008EDC: D3D700D0 0A030154
	buffer_load_dwordx4 a[4:7], v40, s[12:15], 0 offen         // 000000008EE4: E05C1000 80830428
	v_mfma_i32_16x16x32_i8 v[208:211], a[86:87], v[130:131], v[208:211]// 000000008EEC: D3D700D0 0F430556
	v_mfma_i32_16x16x32_i8 v[212:215], a[84:85], v[148:149], 0 // 000000008EF4: D3D700D4 0A032954
	v_mfma_i32_16x16x32_i8 v[212:215], a[86:87], v[150:151], v[212:215]// 000000008EFC: D3D700D4 0F532D56
	v_mfma_i32_16x16x32_i8 v[216:219], a[88:89], v[128:129], 0 // 000000008F04: D3D700D8 0A030158
	buffer_load_dwordx4 a[8:11], v41, s[12:15], 0 offen        // 000000008F0C: E05C1000 80830829
	v_mfma_i32_16x16x32_i8 v[216:219], a[90:91], v[130:131], v[216:219]// 000000008F14: D3D700D8 0F63055A
	v_mfma_i32_16x16x32_i8 v[220:223], a[88:89], v[148:149], 0 // 000000008F1C: D3D700DC 0A032958
	v_mfma_i32_16x16x32_i8 v[220:223], a[90:91], v[150:151], v[220:223]// 000000008F24: D3D700DC 0F732D5A
	v_mfma_i32_16x16x32_i8 v[224:227], a[92:93], v[128:129], 0 // 000000008F2C: D3D700E0 0A03015C
	buffer_load_dwordx4 a[12:15], v42, s[12:15], 0 offen       // 000000008F34: E05C1000 80830C2A
	s_add_u32 s12, s78, s12                                    // 000000008F3C: 800C0C4E
	s_addc_u32 s13, 0, s13                                     // 000000008F40: 820D0D80
	v_mfma_i32_16x16x32_i8 v[224:227], a[94:95], v[130:131], v[224:227]// 000000008F44: D3D700E0 0F83055E
	v_mfma_i32_16x16x32_i8 v[228:231], a[92:93], v[148:149], 0 // 000000008F4C: D3D700E4 0A03295C
	v_mfma_i32_16x16x32_i8 v[228:231], a[94:95], v[150:151], v[228:231]// 000000008F54: D3D700E4 0F932D5E
	s_waitcnt vmcnt(33)                                        // 000000008F5C: BF8C8F71
	v_mfma_i32_16x16x32_i8 v[200:203], a[96:97], v[132:133], v[200:203]// 000000008F60: D3D700C8 0F230960
	buffer_load_dwordx4 a[16:19], v39, s[12:15], 0 offen       // 000000008F68: E05C1000 80831027
	v_mfma_i32_16x16x32_i8 v[200:203], a[98:99], v[134:135], v[200:203]// 000000008F70: D3D700C8 0F230D62
	v_mfma_i32_16x16x32_i8 v[204:207], a[96:97], v[152:153], v[204:207]// 000000008F78: D3D700CC 0F333160
	v_mfma_i32_16x16x32_i8 v[204:207], a[98:99], v[154:155], v[204:207]// 000000008F80: D3D700CC 0F333562
	v_mfma_i32_16x16x32_i8 v[208:211], a[100:101], v[132:133], v[208:211]// 000000008F88: D3D700D0 0F430964
	buffer_load_dwordx4 a[20:23], v40, s[12:15], 0 offen       // 000000008F90: E05C1000 80831428
	v_mfma_i32_16x16x32_i8 v[208:211], a[102:103], v[134:135], v[208:211]// 000000008F98: D3D700D0 0F430D66
	v_mfma_i32_16x16x32_i8 v[212:215], a[100:101], v[152:153], v[212:215]// 000000008FA0: D3D700D4 0F533164
	v_mfma_i32_16x16x32_i8 v[212:215], a[102:103], v[154:155], v[212:215]// 000000008FA8: D3D700D4 0F533566
	v_mfma_i32_16x16x32_i8 v[216:219], a[104:105], v[132:133], v[216:219]// 000000008FB0: D3D700D8 0F630968
	buffer_load_dwordx4 a[24:27], v41, s[12:15], 0 offen       // 000000008FB8: E05C1000 80831829
	v_mfma_i32_16x16x32_i8 v[216:219], a[106:107], v[134:135], v[216:219]// 000000008FC0: D3D700D8 0F630D6A
	v_mfma_i32_16x16x32_i8 v[220:223], a[104:105], v[152:153], v[220:223]// 000000008FC8: D3D700DC 0F733168
	v_mfma_i32_16x16x32_i8 v[220:223], a[106:107], v[154:155], v[220:223]// 000000008FD0: D3D700DC 0F73356A
	v_mfma_i32_16x16x32_i8 v[224:227], a[108:109], v[132:133], v[224:227]// 000000008FD8: D3D700E0 0F83096C
	buffer_load_dwordx4 a[28:31], v42, s[12:15], 0 offen       // 000000008FE0: E05C1000 80831C2A
	s_add_u32 s12, s78, s12                                    // 000000008FE8: 800C0C4E
	s_addc_u32 s13, 0, s13                                     // 000000008FEC: 820D0D80
	v_mfma_i32_16x16x32_i8 v[224:227], a[110:111], v[134:135], v[224:227]// 000000008FF0: D3D700E0 0F830D6E
	v_mfma_i32_16x16x32_i8 v[228:231], a[108:109], v[152:153], v[228:231]// 000000008FF8: D3D700E4 0F93316C
	v_mfma_i32_16x16x32_i8 v[228:231], a[110:111], v[154:155], v[228:231]// 000000009000: D3D700E4 0F93356E
	s_waitcnt vmcnt(33)                                        // 000000009008: BF8C8F71
	v_mfma_i32_16x16x32_i8 v[200:203], a[112:113], v[136:137], v[200:203]// 00000000900C: D3D700C8 0F231170
	buffer_load_dwordx4 a[32:35], v39, s[12:15], 0 offen       // 000000009014: E05C1000 80832027
	v_mfma_i32_16x16x32_i8 v[200:203], a[114:115], v[138:139], v[200:203]// 00000000901C: D3D700C8 0F231572
	v_mfma_i32_16x16x32_i8 v[204:207], a[112:113], v[156:157], v[204:207]// 000000009024: D3D700CC 0F333970
	v_mfma_i32_16x16x32_i8 v[204:207], a[114:115], v[158:159], v[204:207]// 00000000902C: D3D700CC 0F333D72
	v_mfma_i32_16x16x32_i8 v[208:211], a[116:117], v[136:137], v[208:211]// 000000009034: D3D700D0 0F431174
	buffer_load_dwordx4 a[36:39], v40, s[12:15], 0 offen       // 00000000903C: E05C1000 80832428
	v_mfma_i32_16x16x32_i8 v[208:211], a[118:119], v[138:139], v[208:211]// 000000009044: D3D700D0 0F431576
	v_mfma_i32_16x16x32_i8 v[212:215], a[116:117], v[156:157], v[212:215]// 00000000904C: D3D700D4 0F533974
	v_mfma_i32_16x16x32_i8 v[212:215], a[118:119], v[158:159], v[212:215]// 000000009054: D3D700D4 0F533D76
	v_mfma_i32_16x16x32_i8 v[216:219], a[120:121], v[136:137], v[216:219]// 00000000905C: D3D700D8 0F631178
	buffer_load_dwordx4 a[40:43], v41, s[12:15], 0 offen       // 000000009064: E05C1000 80832829
	v_mfma_i32_16x16x32_i8 v[216:219], a[122:123], v[138:139], v[216:219]// 00000000906C: D3D700D8 0F63157A
	v_mfma_i32_16x16x32_i8 v[220:223], a[120:121], v[156:157], v[220:223]// 000000009074: D3D700DC 0F733978
	v_mfma_i32_16x16x32_i8 v[220:223], a[122:123], v[158:159], v[220:223]// 00000000907C: D3D700DC 0F733D7A
	v_mfma_i32_16x16x32_i8 v[224:227], a[124:125], v[136:137], v[224:227]// 000000009084: D3D700E0 0F83117C
	buffer_load_dwordx4 a[44:47], v42, s[12:15], 0 offen       // 00000000908C: E05C1000 80832C2A
	s_add_u32 s12, s78, s12                                    // 000000009094: 800C0C4E
	s_addc_u32 s13, 0, s13                                     // 000000009098: 820D0D80
	v_mfma_i32_16x16x32_i8 v[224:227], a[126:127], v[138:139], v[224:227]// 00000000909C: D3D700E0 0F83157E
	v_mfma_i32_16x16x32_i8 v[228:231], a[124:125], v[156:157], v[228:231]// 0000000090A4: D3D700E4 0F93397C
	v_mfma_i32_16x16x32_i8 v[228:231], a[126:127], v[158:159], v[228:231]// 0000000090AC: D3D700E4 0F933D7E
	s_waitcnt vmcnt(33)                                        // 0000000090B4: BF8C8F71
	v_mfma_i32_16x16x32_i8 v[200:203], a[128:129], v[140:141], v[200:203]// 0000000090B8: D3D700C8 0F231980
	buffer_load_dwordx4 a[48:51], v39, s[12:15], 0 offen       // 0000000090C0: E05C1000 80833027
	v_mfma_i32_16x16x32_i8 v[200:203], a[130:131], v[142:143], v[200:203]// 0000000090C8: D3D700C8 0F231D82
	v_mfma_i32_16x16x32_i8 v[204:207], a[128:129], v[160:161], v[204:207]// 0000000090D0: D3D700CC 0F334180
	v_mfma_i32_16x16x32_i8 v[204:207], a[130:131], v[162:163], v[204:207]// 0000000090D8: D3D700CC 0F334582
	v_mfma_i32_16x16x32_i8 v[208:211], a[132:133], v[140:141], v[208:211]// 0000000090E0: D3D700D0 0F431984
	buffer_load_dwordx4 a[52:55], v40, s[12:15], 0 offen       // 0000000090E8: E05C1000 80833428
	v_mfma_i32_16x16x32_i8 v[208:211], a[134:135], v[142:143], v[208:211]// 0000000090F0: D3D700D0 0F431D86
	v_mfma_i32_16x16x32_i8 v[212:215], a[132:133], v[160:161], v[212:215]// 0000000090F8: D3D700D4 0F534184
	v_mfma_i32_16x16x32_i8 v[212:215], a[134:135], v[162:163], v[212:215]// 000000009100: D3D700D4 0F534586
	v_mfma_i32_16x16x32_i8 v[216:219], a[136:137], v[140:141], v[216:219]// 000000009108: D3D700D8 0F631988
	buffer_load_dwordx4 a[56:59], v41, s[12:15], 0 offen       // 000000009110: E05C1000 80833829
	v_mfma_i32_16x16x32_i8 v[216:219], a[138:139], v[142:143], v[216:219]// 000000009118: D3D700D8 0F631D8A
	v_mfma_i32_16x16x32_i8 v[220:223], a[136:137], v[160:161], v[220:223]// 000000009120: D3D700DC 0F734188
	v_mfma_i32_16x16x32_i8 v[220:223], a[138:139], v[162:163], v[220:223]// 000000009128: D3D700DC 0F73458A
	v_mfma_i32_16x16x32_i8 v[224:227], a[140:141], v[140:141], v[224:227]// 000000009130: D3D700E0 0F83198C
	buffer_load_dwordx4 a[60:63], v42, s[12:15], 0 offen       // 000000009138: E05C1000 80833C2A
	s_add_u32 s12, s78, s12                                    // 000000009140: 800C0C4E
	s_addc_u32 s13, 0, s13                                     // 000000009144: 820D0D80
	v_mfma_i32_16x16x32_i8 v[224:227], a[142:143], v[142:143], v[224:227]// 000000009148: D3D700E0 0F831D8E
	v_mfma_i32_16x16x32_i8 v[228:231], a[140:141], v[160:161], v[228:231]// 000000009150: D3D700E4 0F93418C
	v_mfma_i32_16x16x32_i8 v[228:231], a[142:143], v[162:163], v[228:231]// 000000009158: D3D700E4 0F93458E
	s_waitcnt vmcnt(32)                                        // 000000009160: BF8C8F70
	v_mfma_i32_16x16x32_i8 v[200:203], a[144:145], v[144:145], v[200:203]// 000000009164: D3D700C8 0F232190
	buffer_load_dwordx4 a[64:67], v39, s[12:15], 0 offen       // 00000000916C: E05C1000 80834027
	v_mfma_i32_16x16x32_i8 v[200:203], a[146:147], v[146:147], v[200:203]// 000000009174: D3D700C8 0F232592
	v_mfma_i32_16x16x32_i8 v[204:207], a[144:145], v[164:165], v[204:207]// 00000000917C: D3D700CC 0F334990
	buffer_load_dword v12, v5, s[16:19], 0 offen               // 000000009184: E0501000 80040C05
	v_mfma_i32_16x16x32_i8 v[204:207], a[146:147], v[166:167], v[204:207]// 00000000918C: D3D700CC 0F334D92
	v_mfma_i32_16x16x32_i8 v[208:211], a[148:149], v[144:145], v[208:211]// 000000009194: D3D700D0 0F432194
	buffer_load_dwordx4 a[68:71], v40, s[12:15], 0 offen       // 00000000919C: E05C1000 80834428
	v_mfma_i32_16x16x32_i8 v[208:211], a[150:151], v[146:147], v[208:211]// 0000000091A4: D3D700D0 0F432596
	v_mfma_i32_16x16x32_i8 v[212:215], a[148:149], v[164:165], v[212:215]// 0000000091AC: D3D700D4 0F534994
	v_mfma_i32_16x16x32_i8 v[212:215], a[150:151], v[166:167], v[212:215]// 0000000091B4: D3D700D4 0F534D96
	v_mfma_i32_16x16x32_i8 v[216:219], a[152:153], v[144:145], v[216:219]// 0000000091BC: D3D700D8 0F632198
	buffer_load_dwordx4 a[72:75], v41, s[12:15], 0 offen       // 0000000091C4: E05C1000 80834829
	v_mfma_i32_16x16x32_i8 v[216:219], a[154:155], v[146:147], v[216:219]// 0000000091CC: D3D700D8 0F63259A
	v_mfma_i32_16x16x32_i8 v[220:223], a[152:153], v[164:165], v[220:223]// 0000000091D4: D3D700DC 0F734998
	v_mfma_i32_16x16x32_i8 v[220:223], a[154:155], v[166:167], v[220:223]// 0000000091DC: D3D700DC 0F734D9A
	v_mfma_i32_16x16x32_i8 v[224:227], a[156:157], v[144:145], v[224:227]// 0000000091E4: D3D700E0 0F83219C
	buffer_load_dwordx4 a[76:79], v42, s[12:15], 0 offen       // 0000000091EC: E05C1000 80834C2A
	v_mfma_i32_16x16x32_i8 v[224:227], a[158:159], v[146:147], v[224:227]// 0000000091F4: D3D700E0 0F83259E
	v_mfma_i32_16x16x32_i8 v[228:231], a[156:157], v[164:165], v[228:231]// 0000000091FC: D3D700E4 0F93499C
	v_mfma_i32_16x16x32_i8 v[228:231], a[158:159], v[166:167], v[228:231]// 000000009204: D3D700E4 0F934D9E
	s_add_u32 s60, 0x200, s80                                  // 00000000920C: 803C50FF 00000200
	s_cmp_lt_u32 s60, s81                                      // 000000009214: BF0A513C
	s_cselect_b32 s56, s56, 0                                  // 000000009218: 85388038
	s_cselect_b32 s78, s78, 0                                  // 00000000921C: 854E804E
	s_cselect_b32 s79, s79, 0                                  // 000000009220: 854F804F
	s_add_u32 s12, s56, s12                                    // 000000009224: 800C0C38
	s_addc_u32 s13, 0, s13                                     // 000000009228: 820D0D80
	s_add_u32 s16, s79, s16                                    // 00000000922C: 8010104F
	s_addc_u32 s17, 0, s17                                     // 000000009230: 82111180
	v_cvt_f32_i32_e32 v200, v200                               // 000000009234: 7F900BC8
	v_cvt_f32_i32_e32 v201, v201                               // 000000009238: 7F920BC9
	v_cvt_f32_i32_e32 v202, v202                               // 00000000923C: 7F940BCA
	v_cvt_f32_i32_e32 v203, v203                               // 000000009240: 7F960BCB
	v_mul_f32_e32 v200, v24, v200                              // 000000009244: 0B919118
	v_mul_f32_e32 v201, v24, v201                              // 000000009248: 0B939318
	v_mul_f32_e32 v202, v24, v202                              // 00000000924C: 0B959518
	v_mul_f32_e32 v203, v24, v203                              // 000000009250: 0B979718
	v_mul_f32_dpp v200, v13, v200 row_newbcast:0 row_mask:0xf bank_mask:0xf// 000000009254: 0B9190FA FF01500D
	v_mul_f32_dpp v201, v13, v201 row_newbcast:1 row_mask:0xf bank_mask:0xf// 00000000925C: 0B9392FA FF01510D
	v_mul_f32_dpp v202, v13, v202 row_newbcast:2 row_mask:0xf bank_mask:0xf// 000000009264: 0B9594FA FF01520D
	v_mul_f32_dpp v203, v13, v203 row_newbcast:3 row_mask:0xf bank_mask:0xf// 00000000926C: 0B9796FA FF01530D
	v_mul_f32_e32 v200, v20, v200                              // 000000009274: 0B919114
	v_mul_f32_e32 v201, v20, v201                              // 000000009278: 0B939314
	v_mul_f32_e32 v202, v20, v202                              // 00000000927C: 0B959514
	v_mul_f32_e32 v203, v20, v203                              // 000000009280: 0B979714
	v_cvt_f32_i32_e32 v204, v204                               // 000000009284: 7F980BCC
	v_cvt_f32_i32_e32 v205, v205                               // 000000009288: 7F9A0BCD
	v_cvt_f32_i32_e32 v206, v206                               // 00000000928C: 7F9C0BCE
	v_cvt_f32_i32_e32 v207, v207                               // 000000009290: 7F9E0BCF
	v_mul_f32_e32 v204, v25, v204                              // 000000009294: 0B999919
	v_mul_f32_e32 v205, v25, v205                              // 000000009298: 0B9B9B19
	v_mul_f32_e32 v206, v25, v206                              // 00000000929C: 0B9D9D19
	v_mul_f32_e32 v207, v25, v207                              // 0000000092A0: 0B9F9F19
	v_mul_f32_dpp v204, v13, v204 row_newbcast:0 row_mask:0xf bank_mask:0xf// 0000000092A4: 0B9998FA FF01500D
	v_mul_f32_dpp v205, v13, v205 row_newbcast:1 row_mask:0xf bank_mask:0xf// 0000000092AC: 0B9B9AFA FF01510D
	v_mul_f32_dpp v206, v13, v206 row_newbcast:2 row_mask:0xf bank_mask:0xf// 0000000092B4: 0B9D9CFA FF01520D
	v_mul_f32_dpp v207, v13, v207 row_newbcast:3 row_mask:0xf bank_mask:0xf// 0000000092BC: 0B9F9EFA FF01530D
	v_mul_f32_e32 v204, v21, v204                              // 0000000092C4: 0B999915
	v_mul_f32_e32 v205, v21, v205                              // 0000000092C8: 0B9B9B15
	v_mul_f32_e32 v206, v21, v206                              // 0000000092CC: 0B9D9D15
	v_mul_f32_e32 v207, v21, v207                              // 0000000092D0: 0B9F9F15
	v_cvt_f32_i32_e32 v208, v208                               // 0000000092D4: 7FA00BD0
	v_cvt_f32_i32_e32 v209, v209                               // 0000000092D8: 7FA20BD1
	v_cvt_f32_i32_e32 v210, v210                               // 0000000092DC: 7FA40BD2
	v_cvt_f32_i32_e32 v211, v211                               // 0000000092E0: 7FA60BD3
	v_mul_f32_e32 v208, v24, v208                              // 0000000092E4: 0BA1A118
	v_mul_f32_e32 v209, v24, v209                              // 0000000092E8: 0BA3A318
	v_mul_f32_e32 v210, v24, v210                              // 0000000092EC: 0BA5A518
	v_mul_f32_e32 v211, v24, v211                              // 0000000092F0: 0BA7A718
	v_mul_f32_dpp v208, v13, v208 row_newbcast:4 row_mask:0xf bank_mask:0xf// 0000000092F4: 0BA1A0FA FF01540D
	v_mul_f32_dpp v209, v13, v209 row_newbcast:5 row_mask:0xf bank_mask:0xf// 0000000092FC: 0BA3A2FA FF01550D
	v_mul_f32_dpp v210, v13, v210 row_newbcast:6 row_mask:0xf bank_mask:0xf// 000000009304: 0BA5A4FA FF01560D
	v_mul_f32_dpp v211, v13, v211 row_newbcast:7 row_mask:0xf bank_mask:0xf// 00000000930C: 0BA7A6FA FF01570D
	v_mul_f32_e32 v208, v20, v208                              // 000000009314: 0BA1A114
	v_mul_f32_e32 v209, v20, v209                              // 000000009318: 0BA3A314
	v_mul_f32_e32 v210, v20, v210                              // 00000000931C: 0BA5A514
	v_mul_f32_e32 v211, v20, v211                              // 000000009320: 0BA7A714
	v_cvt_f32_i32_e32 v212, v212                               // 000000009324: 7FA80BD4
	v_cvt_f32_i32_e32 v213, v213                               // 000000009328: 7FAA0BD5
	v_cvt_f32_i32_e32 v214, v214                               // 00000000932C: 7FAC0BD6
	v_cvt_f32_i32_e32 v215, v215                               // 000000009330: 7FAE0BD7
	v_mul_f32_e32 v212, v25, v212                              // 000000009334: 0BA9A919
	v_mul_f32_e32 v213, v25, v213                              // 000000009338: 0BABAB19
	v_mul_f32_e32 v214, v25, v214                              // 00000000933C: 0BADAD19
	v_mul_f32_e32 v215, v25, v215                              // 000000009340: 0BAFAF19
	v_mul_f32_dpp v212, v13, v212 row_newbcast:4 row_mask:0xf bank_mask:0xf// 000000009344: 0BA9A8FA FF01540D
	v_mul_f32_dpp v213, v13, v213 row_newbcast:5 row_mask:0xf bank_mask:0xf// 00000000934C: 0BABAAFA FF01550D
	v_mul_f32_dpp v214, v13, v214 row_newbcast:6 row_mask:0xf bank_mask:0xf// 000000009354: 0BADACFA FF01560D
	v_mul_f32_dpp v215, v13, v215 row_newbcast:7 row_mask:0xf bank_mask:0xf// 00000000935C: 0BAFAEFA FF01570D
	v_mul_f32_e32 v212, v21, v212                              // 000000009364: 0BA9A915
	v_mul_f32_e32 v213, v21, v213                              // 000000009368: 0BABAB15
	v_mul_f32_e32 v214, v21, v214                              // 00000000936C: 0BADAD15
	v_mul_f32_e32 v215, v21, v215                              // 000000009370: 0BAFAF15
	v_cvt_f32_i32_e32 v216, v216                               // 000000009374: 7FB00BD8
	v_cvt_f32_i32_e32 v217, v217                               // 000000009378: 7FB20BD9
	v_cvt_f32_i32_e32 v218, v218                               // 00000000937C: 7FB40BDA
	v_cvt_f32_i32_e32 v219, v219                               // 000000009380: 7FB60BDB
	v_mul_f32_e32 v216, v24, v216                              // 000000009384: 0BB1B118
	v_mul_f32_e32 v217, v24, v217                              // 000000009388: 0BB3B318
	v_mul_f32_e32 v218, v24, v218                              // 00000000938C: 0BB5B518
	v_mul_f32_e32 v219, v24, v219                              // 000000009390: 0BB7B718
	v_mul_f32_dpp v216, v13, v216 row_newbcast:8 row_mask:0xf bank_mask:0xf// 000000009394: 0BB1B0FA FF01580D
	v_mul_f32_dpp v217, v13, v217 row_newbcast:9 row_mask:0xf bank_mask:0xf// 00000000939C: 0BB3B2FA FF01590D
	v_mul_f32_dpp v218, v13, v218 row_newbcast:10 row_mask:0xf bank_mask:0xf// 0000000093A4: 0BB5B4FA FF015A0D
	v_mul_f32_dpp v219, v13, v219 row_newbcast:11 row_mask:0xf bank_mask:0xf// 0000000093AC: 0BB7B6FA FF015B0D
	v_mul_f32_e32 v216, v20, v216                              // 0000000093B4: 0BB1B114
	v_mul_f32_e32 v217, v20, v217                              // 0000000093B8: 0BB3B314
	v_mul_f32_e32 v218, v20, v218                              // 0000000093BC: 0BB5B514
	v_mul_f32_e32 v219, v20, v219                              // 0000000093C0: 0BB7B714
	v_cvt_f32_i32_e32 v220, v220                               // 0000000093C4: 7FB80BDC
	v_cvt_f32_i32_e32 v221, v221                               // 0000000093C8: 7FBA0BDD
	v_cvt_f32_i32_e32 v222, v222                               // 0000000093CC: 7FBC0BDE
	v_cvt_f32_i32_e32 v223, v223                               // 0000000093D0: 7FBE0BDF
	v_mul_f32_e32 v220, v25, v220                              // 0000000093D4: 0BB9B919
	v_mul_f32_e32 v221, v25, v221                              // 0000000093D8: 0BBBBB19
	v_mul_f32_e32 v222, v25, v222                              // 0000000093DC: 0BBDBD19
	v_mul_f32_e32 v223, v25, v223                              // 0000000093E0: 0BBFBF19
	v_mul_f32_dpp v220, v13, v220 row_newbcast:8 row_mask:0xf bank_mask:0xf// 0000000093E4: 0BB9B8FA FF01580D
	v_mul_f32_dpp v221, v13, v221 row_newbcast:9 row_mask:0xf bank_mask:0xf// 0000000093EC: 0BBBBAFA FF01590D
	v_mul_f32_dpp v222, v13, v222 row_newbcast:10 row_mask:0xf bank_mask:0xf// 0000000093F4: 0BBDBCFA FF015A0D
	v_mul_f32_dpp v223, v13, v223 row_newbcast:11 row_mask:0xf bank_mask:0xf// 0000000093FC: 0BBFBEFA FF015B0D
	v_mul_f32_e32 v220, v21, v220                              // 000000009404: 0BB9B915
	v_mul_f32_e32 v221, v21, v221                              // 000000009408: 0BBBBB15
	v_mul_f32_e32 v222, v21, v222                              // 00000000940C: 0BBDBD15
	v_mul_f32_e32 v223, v21, v223                              // 000000009410: 0BBFBF15
	v_cvt_f32_i32_e32 v224, v224                               // 000000009414: 7FC00BE0
	v_cvt_f32_i32_e32 v225, v225                               // 000000009418: 7FC20BE1
	v_cvt_f32_i32_e32 v226, v226                               // 00000000941C: 7FC40BE2
	v_cvt_f32_i32_e32 v227, v227                               // 000000009420: 7FC60BE3
	v_mul_f32_e32 v224, v24, v224                              // 000000009424: 0BC1C118
	v_mul_f32_e32 v225, v24, v225                              // 000000009428: 0BC3C318
	v_mul_f32_e32 v226, v24, v226                              // 00000000942C: 0BC5C518
	v_mul_f32_e32 v227, v24, v227                              // 000000009430: 0BC7C718
	v_mul_f32_dpp v224, v13, v224 row_newbcast:12 row_mask:0xf bank_mask:0xf// 000000009434: 0BC1C0FA FF015C0D
	v_mul_f32_dpp v225, v13, v225 row_newbcast:13 row_mask:0xf bank_mask:0xf// 00000000943C: 0BC3C2FA FF015D0D
	v_mul_f32_dpp v226, v13, v226 row_newbcast:14 row_mask:0xf bank_mask:0xf// 000000009444: 0BC5C4FA FF015E0D
	v_mul_f32_dpp v227, v13, v227 row_newbcast:15 row_mask:0xf bank_mask:0xf// 00000000944C: 0BC7C6FA FF015F0D
	v_mul_f32_e32 v224, v20, v224                              // 000000009454: 0BC1C114
	v_mul_f32_e32 v225, v20, v225                              // 000000009458: 0BC3C314
	v_mul_f32_e32 v226, v20, v226                              // 00000000945C: 0BC5C514
	v_mul_f32_e32 v227, v20, v227                              // 000000009460: 0BC7C714
	v_cvt_f32_i32_e32 v228, v228                               // 000000009464: 7FC80BE4
	v_cvt_f32_i32_e32 v229, v229                               // 000000009468: 7FCA0BE5
	v_cvt_f32_i32_e32 v230, v230                               // 00000000946C: 7FCC0BE6
	v_cvt_f32_i32_e32 v231, v231                               // 000000009470: 7FCE0BE7
	v_mul_f32_e32 v228, v25, v228                              // 000000009474: 0BC9C919
	v_mul_f32_e32 v229, v25, v229                              // 000000009478: 0BCBCB19
	v_mul_f32_e32 v230, v25, v230                              // 00000000947C: 0BCDCD19
	v_mul_f32_e32 v231, v25, v231                              // 000000009480: 0BCFCF19
	v_mul_f32_dpp v228, v13, v228 row_newbcast:12 row_mask:0xf bank_mask:0xf// 000000009484: 0BC9C8FA FF015C0D
	v_mul_f32_dpp v229, v13, v229 row_newbcast:13 row_mask:0xf bank_mask:0xf// 00000000948C: 0BCBCAFA FF015D0D
	v_mul_f32_dpp v230, v13, v230 row_newbcast:14 row_mask:0xf bank_mask:0xf// 000000009494: 0BCDCCFA FF015E0D
	v_mul_f32_dpp v231, v13, v231 row_newbcast:15 row_mask:0xf bank_mask:0xf// 00000000949C: 0BCFCEFA FF015F0D
	v_mul_f32_e32 v228, v21, v228                              // 0000000094A4: 0BC9C915
	v_mul_f32_e32 v229, v21, v229                              // 0000000094A8: 0BCBCB15
	v_mul_f32_e32 v230, v21, v230                              // 0000000094AC: 0BCDCD15
	v_mul_f32_e32 v231, v21, v231                              // 0000000094B0: 0BCFCF15
	v_cmp_u_f32_e64 s[48:49], v200, v200                       // 0000000094B4: D0480030 000391C8
	v_add3_u32 v43, v200, v46, 1                               // 0000000094BC: D1FF002B 02065DC8
	v_cndmask_b32_e64 v48, v43, v45, s[48:49]                  // 0000000094C4: D1000030 00C25B2B
	v_cmp_u_f32_e64 s[48:49], v201, v201                       // 0000000094CC: D0480030 000393C9
	v_add3_u32 v43, v201, v46, 1                               // 0000000094D4: D1FF002B 02065DC9
	v_cndmask_b32_e64 v49, v43, v45, s[48:49]                  // 0000000094DC: D1000031 00C25B2B
	v_perm_b32 v200, v49, v48, s52                             // 0000000094E4: D1ED00C8 00D26131
	v_cmp_u_f32_e64 s[48:49], v202, v202                       // 0000000094EC: D0480030 000395CA
	v_add3_u32 v43, v202, v46, 1                               // 0000000094F4: D1FF002B 02065DCA
	v_cndmask_b32_e64 v48, v43, v45, s[48:49]                  // 0000000094FC: D1000030 00C25B2B
	v_cmp_u_f32_e64 s[48:49], v203, v203                       // 000000009504: D0480030 000397CB
	v_add3_u32 v43, v203, v46, 1                               // 00000000950C: D1FF002B 02065DCB
	v_cndmask_b32_e64 v49, v43, v45, s[48:49]                  // 000000009514: D1000031 00C25B2B
	v_perm_b32 v201, v49, v48, s52                             // 00000000951C: D1ED00C9 00D26131
	v_cmp_u_f32_e64 s[48:49], v204, v204                       // 000000009524: D0480030 000399CC
	v_add3_u32 v43, v204, v46, 1                               // 00000000952C: D1FF002B 02065DCC
	v_cndmask_b32_e64 v48, v43, v45, s[48:49]                  // 000000009534: D1000030 00C25B2B
	v_cmp_u_f32_e64 s[48:49], v205, v205                       // 00000000953C: D0480030 00039BCD
	v_add3_u32 v43, v205, v46, 1                               // 000000009544: D1FF002B 02065DCD
	v_cndmask_b32_e64 v49, v43, v45, s[48:49]                  // 00000000954C: D1000031 00C25B2B
	v_perm_b32 v202, v49, v48, s52                             // 000000009554: D1ED00CA 00D26131
	v_cmp_u_f32_e64 s[48:49], v206, v206                       // 00000000955C: D0480030 00039DCE
	v_add3_u32 v43, v206, v46, 1                               // 000000009564: D1FF002B 02065DCE
	v_cndmask_b32_e64 v48, v43, v45, s[48:49]                  // 00000000956C: D1000030 00C25B2B
	v_cmp_u_f32_e64 s[48:49], v207, v207                       // 000000009574: D0480030 00039FCF
	v_add3_u32 v43, v207, v46, 1                               // 00000000957C: D1FF002B 02065DCF
	v_cndmask_b32_e64 v49, v43, v45, s[48:49]                  // 000000009584: D1000031 00C25B2B
	v_perm_b32 v203, v49, v48, s52                             // 00000000958C: D1ED00CB 00D26131
	v_cmp_u_f32_e64 s[48:49], v208, v208                       // 000000009594: D0480030 0003A1D0
	v_add3_u32 v43, v208, v46, 1                               // 00000000959C: D1FF002B 02065DD0
	v_cndmask_b32_e64 v48, v43, v45, s[48:49]                  // 0000000095A4: D1000030 00C25B2B
	v_cmp_u_f32_e64 s[48:49], v209, v209                       // 0000000095AC: D0480030 0003A3D1
	v_add3_u32 v43, v209, v46, 1                               // 0000000095B4: D1FF002B 02065DD1
	v_cndmask_b32_e64 v49, v43, v45, s[48:49]                  // 0000000095BC: D1000031 00C25B2B
	v_perm_b32 v204, v49, v48, s52                             // 0000000095C4: D1ED00CC 00D26131
	v_cmp_u_f32_e64 s[48:49], v210, v210                       // 0000000095CC: D0480030 0003A5D2
	v_add3_u32 v43, v210, v46, 1                               // 0000000095D4: D1FF002B 02065DD2
	v_cndmask_b32_e64 v48, v43, v45, s[48:49]                  // 0000000095DC: D1000030 00C25B2B
	v_cmp_u_f32_e64 s[48:49], v211, v211                       // 0000000095E4: D0480030 0003A7D3
	v_add3_u32 v43, v211, v46, 1                               // 0000000095EC: D1FF002B 02065DD3
	v_cndmask_b32_e64 v49, v43, v45, s[48:49]                  // 0000000095F4: D1000031 00C25B2B
	v_perm_b32 v205, v49, v48, s52                             // 0000000095FC: D1ED00CD 00D26131
	v_cmp_u_f32_e64 s[48:49], v212, v212                       // 000000009604: D0480030 0003A9D4
	v_add3_u32 v43, v212, v46, 1                               // 00000000960C: D1FF002B 02065DD4
	v_cndmask_b32_e64 v48, v43, v45, s[48:49]                  // 000000009614: D1000030 00C25B2B
	v_cmp_u_f32_e64 s[48:49], v213, v213                       // 00000000961C: D0480030 0003ABD5
	v_add3_u32 v43, v213, v46, 1                               // 000000009624: D1FF002B 02065DD5
	v_cndmask_b32_e64 v49, v43, v45, s[48:49]                  // 00000000962C: D1000031 00C25B2B
	v_perm_b32 v206, v49, v48, s52                             // 000000009634: D1ED00CE 00D26131
	v_cmp_u_f32_e64 s[48:49], v214, v214                       // 00000000963C: D0480030 0003ADD6
	v_add3_u32 v43, v214, v46, 1                               // 000000009644: D1FF002B 02065DD6
	v_cndmask_b32_e64 v48, v43, v45, s[48:49]                  // 00000000964C: D1000030 00C25B2B
	v_cmp_u_f32_e64 s[48:49], v215, v215                       // 000000009654: D0480030 0003AFD7
	v_add3_u32 v43, v215, v46, 1                               // 00000000965C: D1FF002B 02065DD7
	v_cndmask_b32_e64 v49, v43, v45, s[48:49]                  // 000000009664: D1000031 00C25B2B
	v_perm_b32 v207, v49, v48, s52                             // 00000000966C: D1ED00CF 00D26131
	v_cmp_u_f32_e64 s[48:49], v216, v216                       // 000000009674: D0480030 0003B1D8
	v_add3_u32 v43, v216, v46, 1                               // 00000000967C: D1FF002B 02065DD8
	v_cndmask_b32_e64 v48, v43, v45, s[48:49]                  // 000000009684: D1000030 00C25B2B
	v_cmp_u_f32_e64 s[48:49], v217, v217                       // 00000000968C: D0480030 0003B3D9
	v_add3_u32 v43, v217, v46, 1                               // 000000009694: D1FF002B 02065DD9
	v_cndmask_b32_e64 v49, v43, v45, s[48:49]                  // 00000000969C: D1000031 00C25B2B
	v_perm_b32 v208, v49, v48, s52                             // 0000000096A4: D1ED00D0 00D26131
	v_cmp_u_f32_e64 s[48:49], v218, v218                       // 0000000096AC: D0480030 0003B5DA
	v_add3_u32 v43, v218, v46, 1                               // 0000000096B4: D1FF002B 02065DDA
	v_cndmask_b32_e64 v48, v43, v45, s[48:49]                  // 0000000096BC: D1000030 00C25B2B
	v_cmp_u_f32_e64 s[48:49], v219, v219                       // 0000000096C4: D0480030 0003B7DB
	v_add3_u32 v43, v219, v46, 1                               // 0000000096CC: D1FF002B 02065DDB
	v_cndmask_b32_e64 v49, v43, v45, s[48:49]                  // 0000000096D4: D1000031 00C25B2B
	v_perm_b32 v209, v49, v48, s52                             // 0000000096DC: D1ED00D1 00D26131
	v_cmp_u_f32_e64 s[48:49], v220, v220                       // 0000000096E4: D0480030 0003B9DC
	v_add3_u32 v43, v220, v46, 1                               // 0000000096EC: D1FF002B 02065DDC
	v_cndmask_b32_e64 v48, v43, v45, s[48:49]                  // 0000000096F4: D1000030 00C25B2B
	v_cmp_u_f32_e64 s[48:49], v221, v221                       // 0000000096FC: D0480030 0003BBDD
	v_add3_u32 v43, v221, v46, 1                               // 000000009704: D1FF002B 02065DDD
	v_cndmask_b32_e64 v49, v43, v45, s[48:49]                  // 00000000970C: D1000031 00C25B2B
	v_perm_b32 v210, v49, v48, s52                             // 000000009714: D1ED00D2 00D26131
	v_cmp_u_f32_e64 s[48:49], v222, v222                       // 00000000971C: D0480030 0003BDDE
	v_add3_u32 v43, v222, v46, 1                               // 000000009724: D1FF002B 02065DDE
	v_cndmask_b32_e64 v48, v43, v45, s[48:49]                  // 00000000972C: D1000030 00C25B2B
	v_cmp_u_f32_e64 s[48:49], v223, v223                       // 000000009734: D0480030 0003BFDF
	v_add3_u32 v43, v223, v46, 1                               // 00000000973C: D1FF002B 02065DDF
	v_cndmask_b32_e64 v49, v43, v45, s[48:49]                  // 000000009744: D1000031 00C25B2B
	v_perm_b32 v211, v49, v48, s52                             // 00000000974C: D1ED00D3 00D26131
	v_cmp_u_f32_e64 s[48:49], v224, v224                       // 000000009754: D0480030 0003C1E0
	v_add3_u32 v43, v224, v46, 1                               // 00000000975C: D1FF002B 02065DE0
	v_cndmask_b32_e64 v48, v43, v45, s[48:49]                  // 000000009764: D1000030 00C25B2B
	v_cmp_u_f32_e64 s[48:49], v225, v225                       // 00000000976C: D0480030 0003C3E1
	v_add3_u32 v43, v225, v46, 1                               // 000000009774: D1FF002B 02065DE1
	v_cndmask_b32_e64 v49, v43, v45, s[48:49]                  // 00000000977C: D1000031 00C25B2B
	v_perm_b32 v212, v49, v48, s52                             // 000000009784: D1ED00D4 00D26131
	v_cmp_u_f32_e64 s[48:49], v226, v226                       // 00000000978C: D0480030 0003C5E2
	v_add3_u32 v43, v226, v46, 1                               // 000000009794: D1FF002B 02065DE2
	v_cndmask_b32_e64 v48, v43, v45, s[48:49]                  // 00000000979C: D1000030 00C25B2B
	v_cmp_u_f32_e64 s[48:49], v227, v227                       // 0000000097A4: D0480030 0003C7E3
	v_add3_u32 v43, v227, v46, 1                               // 0000000097AC: D1FF002B 02065DE3
	v_cndmask_b32_e64 v49, v43, v45, s[48:49]                  // 0000000097B4: D1000031 00C25B2B
	v_perm_b32 v213, v49, v48, s52                             // 0000000097BC: D1ED00D5 00D26131
	v_cmp_u_f32_e64 s[48:49], v228, v228                       // 0000000097C4: D0480030 0003C9E4
	v_add3_u32 v43, v228, v46, 1                               // 0000000097CC: D1FF002B 02065DE4
	v_cndmask_b32_e64 v48, v43, v45, s[48:49]                  // 0000000097D4: D1000030 00C25B2B
	v_cmp_u_f32_e64 s[48:49], v229, v229                       // 0000000097DC: D0480030 0003CBE5
	v_add3_u32 v43, v229, v46, 1                               // 0000000097E4: D1FF002B 02065DE5
	v_cndmask_b32_e64 v49, v43, v45, s[48:49]                  // 0000000097EC: D1000031 00C25B2B
	v_perm_b32 v214, v49, v48, s52                             // 0000000097F4: D1ED00D6 00D26131
	v_cmp_u_f32_e64 s[48:49], v230, v230                       // 0000000097FC: D0480030 0003CDE6
	v_add3_u32 v43, v230, v46, 1                               // 000000009804: D1FF002B 02065DE6
	v_cndmask_b32_e64 v48, v43, v45, s[48:49]                  // 00000000980C: D1000030 00C25B2B
	v_cmp_u_f32_e64 s[48:49], v231, v231                       // 000000009814: D0480030 0003CFE7
	v_add3_u32 v43, v231, v46, 1                               // 00000000981C: D1FF002B 02065DE7
	v_cndmask_b32_e64 v49, v43, v45, s[48:49]                  // 000000009824: D1000031 00C25B2B
	v_perm_b32 v215, v49, v48, s52                             // 00000000982C: D1ED00D7 00D26131
	ds_write_b64 v3, v[200:201] offset:28928                   // 000000009834: D89A7100 0000C803
	ds_write_b64 v3, v[202:203] offset:37632                   // 00000000983C: D89A9300 0000CA03
	ds_write_b64 v3, v[204:205] offset:31104                   // 000000009844: D89A7980 0000CC03
	ds_write_b64 v3, v[206:207] offset:39808                   // 00000000984C: D89A9B80 0000CE03
	ds_write_b64 v3, v[208:209] offset:33280                   // 000000009854: D89A8200 0000D003
	ds_write_b64 v3, v[210:211] offset:41984                   // 00000000985C: D89AA400 0000D203
	ds_write_b64 v3, v[212:213] offset:35456                   // 000000009864: D89A8A80 0000D403
	ds_write_b64 v3, v[214:215] offset:44160                   // 00000000986C: D89AAC80 0000D603
	s_waitcnt lgkmcnt(0)                                       // 000000009874: BF8CC07F
	s_barrier                                                  // 000000009878: BF8A0000
	ds_read_b32 v64, v4 offset:28928                           // 00000000987C: D86C7100 40000004
	ds_read_b32 v65, v4 offset:33280                           // 000000009884: D86C8200 41000004
	ds_read_b32 v66, v4 offset:28960                           // 00000000988C: D86C7120 42000004
	ds_read_b32 v67, v4 offset:33312                           // 000000009894: D86C8220 43000004
	ds_read_b32 v68, v4 offset:28992                           // 00000000989C: D86C7140 44000004
	ds_read_b32 v69, v4 offset:33344                           // 0000000098A4: D86C8240 45000004
	ds_read_b32 v70, v4 offset:29024                           // 0000000098AC: D86C7160 46000004
	ds_read_b32 v71, v4 offset:33376                           // 0000000098B4: D86C8260 47000004
	ds_read_b32 v72, v4 offset:37632                           // 0000000098BC: D86C9300 48000004
	ds_read_b32 v73, v4 offset:41984                           // 0000000098C4: D86CA400 49000004
	ds_read_b32 v74, v4 offset:37664                           // 0000000098CC: D86C9320 4A000004
	ds_read_b32 v75, v4 offset:42016                           // 0000000098D4: D86CA420 4B000004
	ds_read_b32 v76, v4 offset:37696                           // 0000000098DC: D86C9340 4C000004
	ds_read_b32 v77, v4 offset:42048                           // 0000000098E4: D86CA440 4D000004
	ds_read_b32 v78, v4 offset:37728                           // 0000000098EC: D86C9360 4E000004
	ds_read_b32 v79, v4 offset:42080                           // 0000000098F4: D86CA460 4F000004
	s_waitcnt lgkmcnt(0)                                       // 0000000098FC: BF8CC07F
	s_mov_b64 exec, s[20:21]                                   // 000000009900: BEFE0114
	global_atomic_pk_add_bf16 v80, v64, s[8:9]                 // 000000009904: DD488000 00084050
	s_mov_b64 exec, s[36:37]                                   // 00000000990C: BEFE0124
	s_mov_b64 exec, s[20:21]                                   // 000000009910: BEFE0114
	global_atomic_pk_add_bf16 v80, v65, s[8:9] offset:256      // 000000009914: DD488100 00084150
	s_mov_b64 exec, s[36:37]                                   // 00000000991C: BEFE0124
	s_mov_b64 exec, s[22:23]                                   // 000000009920: BEFE0116
	global_atomic_pk_add_bf16 v82, v66, s[8:9]                 // 000000009924: DD488000 00084252
	s_mov_b64 exec, s[36:37]                                   // 00000000992C: BEFE0124
	s_mov_b64 exec, s[22:23]                                   // 000000009930: BEFE0116
	global_atomic_pk_add_bf16 v82, v67, s[8:9] offset:256      // 000000009934: DD488100 00084352
	s_mov_b64 exec, s[36:37]                                   // 00000000993C: BEFE0124
	s_mov_b64 exec, s[24:25]                                   // 000000009940: BEFE0118
	global_atomic_pk_add_bf16 v84, v68, s[8:9]                 // 000000009944: DD488000 00084454
	s_mov_b64 exec, s[36:37]                                   // 00000000994C: BEFE0124
	s_mov_b64 exec, s[24:25]                                   // 000000009950: BEFE0118
	global_atomic_pk_add_bf16 v84, v69, s[8:9] offset:256      // 000000009954: DD488100 00084554
	s_mov_b64 exec, s[36:37]                                   // 00000000995C: BEFE0124
	s_mov_b64 exec, s[26:27]                                   // 000000009960: BEFE011A
	global_atomic_pk_add_bf16 v86, v70, s[8:9]                 // 000000009964: DD488000 00084656
	s_mov_b64 exec, s[36:37]                                   // 00000000996C: BEFE0124
	s_mov_b64 exec, s[26:27]                                   // 000000009970: BEFE011A
	global_atomic_pk_add_bf16 v86, v71, s[8:9] offset:256      // 000000009974: DD488100 00084756
	s_mov_b64 exec, s[36:37]                                   // 00000000997C: BEFE0124
	s_mov_b64 exec, s[28:29]                                   // 000000009980: BEFE011C
	global_atomic_pk_add_bf16 v88, v72, s[8:9]                 // 000000009984: DD488000 00084858
	s_mov_b64 exec, s[36:37]                                   // 00000000998C: BEFE0124
	s_mov_b64 exec, s[28:29]                                   // 000000009990: BEFE011C
	global_atomic_pk_add_bf16 v88, v73, s[8:9] offset:256      // 000000009994: DD488100 00084958
	s_mov_b64 exec, s[36:37]                                   // 00000000999C: BEFE0124
	s_mov_b64 exec, s[30:31]                                   // 0000000099A0: BEFE011E
	global_atomic_pk_add_bf16 v90, v74, s[8:9]                 // 0000000099A4: DD488000 00084A5A
	s_mov_b64 exec, s[36:37]                                   // 0000000099AC: BEFE0124
	s_mov_b64 exec, s[30:31]                                   // 0000000099B0: BEFE011E
	global_atomic_pk_add_bf16 v90, v75, s[8:9] offset:256      // 0000000099B4: DD488100 00084B5A
	s_mov_b64 exec, s[36:37]                                   // 0000000099BC: BEFE0124
	s_mov_b64 exec, s[32:33]                                   // 0000000099C0: BEFE0120
	global_atomic_pk_add_bf16 v92, v76, s[8:9]                 // 0000000099C4: DD488000 00084C5C
	s_mov_b64 exec, s[36:37]                                   // 0000000099CC: BEFE0124
	s_mov_b64 exec, s[32:33]                                   // 0000000099D0: BEFE0120
	global_atomic_pk_add_bf16 v92, v77, s[8:9] offset:256      // 0000000099D4: DD488100 00084D5C
	s_mov_b64 exec, s[36:37]                                   // 0000000099DC: BEFE0124
	s_mov_b64 exec, s[34:35]                                   // 0000000099E0: BEFE0122
	global_atomic_pk_add_bf16 v94, v78, s[8:9]                 // 0000000099E4: DD488000 00084E5E
	s_mov_b64 exec, s[36:37]                                   // 0000000099EC: BEFE0124
	s_mov_b64 exec, s[34:35]                                   // 0000000099F0: BEFE0122
	global_atomic_pk_add_bf16 v94, v79, s[8:9] offset:256      // 0000000099F4: DD488100 00084F5E
	s_mov_b64 exec, s[36:37]                                   // 0000000099FC: BEFE0124
	s_add_u32 s8, s59, s8                                      // 000000009A00: 8008083B
	s_addc_u32 s9, 0, s9                                       // 000000009A04: 82090980
	s_addk_i32 s80, 0x100                                      // 000000009A08: B7500100
	s_cmp_lt_i32 s80, s81                                      // 000000009A0C: BF045150
	s_cbranch_scc0 label_0EE3                                  // 000000009A10: BF84F3DE
	s_branch label_1551                                        // 000000009A14: BF82FA4B

0000000000009a18 <label_1B06>:
	s_waitcnt vmcnt(0) expcnt(0) lgkmcnt(0)                    // 000000009A18: BF8C0000
	s_add_u32 s100, s100, 1                                    // 000000009A1C: 80648164
	s_cmp_eq_u32 s96, 0                                        // 000000009A20: BF068060
	s_cbranch_scc0 label_0039                                  // 000000009A24: BF84E52F

0000000000009a28 <label_1B0A>:
	s_waitcnt vmcnt(0) expcnt(0) lgkmcnt(0)                    // 000000009A28: BF8C0000
	s_endpgm                                                   // 000000009A2C: BF810000
